;; amdgpu-corpus repo=ROCm/rocFFT kind=compiled arch=gfx1201 opt=O3
	.text
	.amdgcn_target "amdgcn-amd-amdhsa--gfx1201"
	.amdhsa_code_object_version 6
	.protected	fft_rtc_fwd_len3240_factors_3_3_10_6_6_wgs_108_tpt_108_halfLds_dp_op_CI_CI_unitstride_sbrr_dirReg ; -- Begin function fft_rtc_fwd_len3240_factors_3_3_10_6_6_wgs_108_tpt_108_halfLds_dp_op_CI_CI_unitstride_sbrr_dirReg
	.globl	fft_rtc_fwd_len3240_factors_3_3_10_6_6_wgs_108_tpt_108_halfLds_dp_op_CI_CI_unitstride_sbrr_dirReg
	.p2align	8
	.type	fft_rtc_fwd_len3240_factors_3_3_10_6_6_wgs_108_tpt_108_halfLds_dp_op_CI_CI_unitstride_sbrr_dirReg,@function
fft_rtc_fwd_len3240_factors_3_3_10_6_6_wgs_108_tpt_108_halfLds_dp_op_CI_CI_unitstride_sbrr_dirReg: ; @fft_rtc_fwd_len3240_factors_3_3_10_6_6_wgs_108_tpt_108_halfLds_dp_op_CI_CI_unitstride_sbrr_dirReg
; %bb.0:
	s_clause 0x2
	s_load_b128 s[8:11], s[0:1], 0x0
	s_load_b128 s[4:7], s[0:1], 0x58
	;; [unrolled: 1-line block ×3, first 2 shown]
	v_mul_u32_u24_e32 v1, 0x25f, v0
	v_mov_b32_e32 v3, 0
	s_delay_alu instid0(VALU_DEP_2) | instskip(NEXT) | instid1(VALU_DEP_1)
	v_lshrrev_b32_e32 v1, 16, v1
	v_add_nc_u32_e32 v5, ttmp9, v1
	v_mov_b32_e32 v1, 0
	v_mov_b32_e32 v2, 0
	;; [unrolled: 1-line block ×3, first 2 shown]
	s_wait_kmcnt 0x0
	v_cmp_lt_u64_e64 s2, s[10:11], 2
	s_delay_alu instid0(VALU_DEP_1)
	s_and_b32 vcc_lo, exec_lo, s2
	s_cbranch_vccnz .LBB0_8
; %bb.1:
	s_load_b64 s[2:3], s[0:1], 0x10
	v_mov_b32_e32 v1, 0
	v_mov_b32_e32 v2, 0
	s_add_nc_u64 s[16:17], s[14:15], 8
	s_add_nc_u64 s[18:19], s[12:13], 8
	s_mov_b64 s[20:21], 1
	s_delay_alu instid0(VALU_DEP_1)
	v_dual_mov_b32 v209, v2 :: v_dual_mov_b32 v208, v1
	s_wait_kmcnt 0x0
	s_add_nc_u64 s[22:23], s[2:3], 8
	s_mov_b32 s3, 0
.LBB0_2:                                ; =>This Inner Loop Header: Depth=1
	s_load_b64 s[24:25], s[22:23], 0x0
                                        ; implicit-def: $vgpr172_vgpr173
	s_mov_b32 s2, exec_lo
	s_wait_kmcnt 0x0
	v_or_b32_e32 v4, s25, v6
	s_delay_alu instid0(VALU_DEP_1)
	v_cmpx_ne_u64_e32 0, v[3:4]
	s_wait_alu 0xfffe
	s_xor_b32 s26, exec_lo, s2
	s_cbranch_execz .LBB0_4
; %bb.3:                                ;   in Loop: Header=BB0_2 Depth=1
	s_cvt_f32_u32 s2, s24
	s_cvt_f32_u32 s27, s25
	s_sub_nc_u64 s[30:31], 0, s[24:25]
	s_wait_alu 0xfffe
	s_delay_alu instid0(SALU_CYCLE_1) | instskip(SKIP_1) | instid1(SALU_CYCLE_2)
	s_fmamk_f32 s2, s27, 0x4f800000, s2
	s_wait_alu 0xfffe
	v_s_rcp_f32 s2, s2
	s_delay_alu instid0(TRANS32_DEP_1) | instskip(SKIP_1) | instid1(SALU_CYCLE_2)
	s_mul_f32 s2, s2, 0x5f7ffffc
	s_wait_alu 0xfffe
	s_mul_f32 s27, s2, 0x2f800000
	s_wait_alu 0xfffe
	s_delay_alu instid0(SALU_CYCLE_2) | instskip(SKIP_1) | instid1(SALU_CYCLE_2)
	s_trunc_f32 s27, s27
	s_wait_alu 0xfffe
	s_fmamk_f32 s2, s27, 0xcf800000, s2
	s_cvt_u32_f32 s29, s27
	s_wait_alu 0xfffe
	s_delay_alu instid0(SALU_CYCLE_1) | instskip(SKIP_1) | instid1(SALU_CYCLE_2)
	s_cvt_u32_f32 s28, s2
	s_wait_alu 0xfffe
	s_mul_u64 s[34:35], s[30:31], s[28:29]
	s_wait_alu 0xfffe
	s_mul_hi_u32 s37, s28, s35
	s_mul_i32 s36, s28, s35
	s_mul_hi_u32 s2, s28, s34
	s_mul_i32 s33, s29, s34
	s_wait_alu 0xfffe
	s_add_nc_u64 s[36:37], s[2:3], s[36:37]
	s_mul_hi_u32 s27, s29, s34
	s_mul_hi_u32 s38, s29, s35
	s_add_co_u32 s2, s36, s33
	s_wait_alu 0xfffe
	s_add_co_ci_u32 s2, s37, s27
	s_mul_i32 s34, s29, s35
	s_add_co_ci_u32 s35, s38, 0
	s_wait_alu 0xfffe
	s_add_nc_u64 s[34:35], s[2:3], s[34:35]
	s_wait_alu 0xfffe
	v_add_co_u32 v4, s2, s28, s34
	s_delay_alu instid0(VALU_DEP_1) | instskip(SKIP_1) | instid1(VALU_DEP_1)
	s_cmp_lg_u32 s2, 0
	s_add_co_ci_u32 s29, s29, s35
	v_readfirstlane_b32 s28, v4
	s_wait_alu 0xfffe
	s_delay_alu instid0(VALU_DEP_1)
	s_mul_u64 s[30:31], s[30:31], s[28:29]
	s_wait_alu 0xfffe
	s_mul_hi_u32 s35, s28, s31
	s_mul_i32 s34, s28, s31
	s_mul_hi_u32 s2, s28, s30
	s_mul_i32 s33, s29, s30
	s_wait_alu 0xfffe
	s_add_nc_u64 s[34:35], s[2:3], s[34:35]
	s_mul_hi_u32 s27, s29, s30
	s_mul_hi_u32 s28, s29, s31
	s_wait_alu 0xfffe
	s_add_co_u32 s2, s34, s33
	s_add_co_ci_u32 s2, s35, s27
	s_mul_i32 s30, s29, s31
	s_add_co_ci_u32 s31, s28, 0
	s_wait_alu 0xfffe
	s_add_nc_u64 s[30:31], s[2:3], s[30:31]
	s_wait_alu 0xfffe
	v_add_co_u32 v4, s2, v4, s30
	s_delay_alu instid0(VALU_DEP_1) | instskip(SKIP_1) | instid1(VALU_DEP_1)
	s_cmp_lg_u32 s2, 0
	s_add_co_ci_u32 s2, s29, s31
	v_mul_hi_u32 v13, v5, v4
	s_wait_alu 0xfffe
	v_mad_co_u64_u32 v[7:8], null, v5, s2, 0
	v_mad_co_u64_u32 v[9:10], null, v6, v4, 0
	;; [unrolled: 1-line block ×3, first 2 shown]
	s_delay_alu instid0(VALU_DEP_3) | instskip(SKIP_1) | instid1(VALU_DEP_4)
	v_add_co_u32 v4, vcc_lo, v13, v7
	s_wait_alu 0xfffd
	v_add_co_ci_u32_e32 v7, vcc_lo, 0, v8, vcc_lo
	s_delay_alu instid0(VALU_DEP_2) | instskip(SKIP_1) | instid1(VALU_DEP_2)
	v_add_co_u32 v4, vcc_lo, v4, v9
	s_wait_alu 0xfffd
	v_add_co_ci_u32_e32 v4, vcc_lo, v7, v10, vcc_lo
	s_wait_alu 0xfffd
	v_add_co_ci_u32_e32 v7, vcc_lo, 0, v12, vcc_lo
	s_delay_alu instid0(VALU_DEP_2) | instskip(SKIP_1) | instid1(VALU_DEP_2)
	v_add_co_u32 v4, vcc_lo, v4, v11
	s_wait_alu 0xfffd
	v_add_co_ci_u32_e32 v9, vcc_lo, 0, v7, vcc_lo
	s_delay_alu instid0(VALU_DEP_2) | instskip(SKIP_1) | instid1(VALU_DEP_3)
	v_mul_lo_u32 v10, s25, v4
	v_mad_co_u64_u32 v[7:8], null, s24, v4, 0
	v_mul_lo_u32 v11, s24, v9
	s_delay_alu instid0(VALU_DEP_2) | instskip(NEXT) | instid1(VALU_DEP_2)
	v_sub_co_u32 v7, vcc_lo, v5, v7
	v_add3_u32 v8, v8, v11, v10
	s_delay_alu instid0(VALU_DEP_1) | instskip(SKIP_1) | instid1(VALU_DEP_1)
	v_sub_nc_u32_e32 v10, v6, v8
	s_wait_alu 0xfffd
	v_subrev_co_ci_u32_e64 v10, s2, s25, v10, vcc_lo
	v_add_co_u32 v11, s2, v4, 2
	s_wait_alu 0xf1ff
	v_add_co_ci_u32_e64 v12, s2, 0, v9, s2
	v_sub_co_u32 v13, s2, v7, s24
	v_sub_co_ci_u32_e32 v8, vcc_lo, v6, v8, vcc_lo
	s_wait_alu 0xf1ff
	v_subrev_co_ci_u32_e64 v10, s2, 0, v10, s2
	s_delay_alu instid0(VALU_DEP_3) | instskip(NEXT) | instid1(VALU_DEP_3)
	v_cmp_le_u32_e32 vcc_lo, s24, v13
	v_cmp_eq_u32_e64 s2, s25, v8
	s_wait_alu 0xfffd
	v_cndmask_b32_e64 v13, 0, -1, vcc_lo
	v_cmp_le_u32_e32 vcc_lo, s25, v10
	s_wait_alu 0xfffd
	v_cndmask_b32_e64 v14, 0, -1, vcc_lo
	v_cmp_le_u32_e32 vcc_lo, s24, v7
	;; [unrolled: 3-line block ×3, first 2 shown]
	s_wait_alu 0xfffd
	v_cndmask_b32_e64 v15, 0, -1, vcc_lo
	v_cmp_eq_u32_e32 vcc_lo, s25, v10
	s_wait_alu 0xf1ff
	s_delay_alu instid0(VALU_DEP_2)
	v_cndmask_b32_e64 v7, v15, v7, s2
	s_wait_alu 0xfffd
	v_cndmask_b32_e32 v10, v14, v13, vcc_lo
	v_add_co_u32 v13, vcc_lo, v4, 1
	s_wait_alu 0xfffd
	v_add_co_ci_u32_e32 v14, vcc_lo, 0, v9, vcc_lo
	s_delay_alu instid0(VALU_DEP_3) | instskip(SKIP_1) | instid1(VALU_DEP_2)
	v_cmp_ne_u32_e32 vcc_lo, 0, v10
	s_wait_alu 0xfffd
	v_cndmask_b32_e32 v8, v14, v12, vcc_lo
	v_cndmask_b32_e32 v10, v13, v11, vcc_lo
	v_cmp_ne_u32_e32 vcc_lo, 0, v7
	s_wait_alu 0xfffd
	s_delay_alu instid0(VALU_DEP_2)
	v_dual_cndmask_b32 v173, v9, v8 :: v_dual_cndmask_b32 v172, v4, v10
.LBB0_4:                                ;   in Loop: Header=BB0_2 Depth=1
	s_wait_alu 0xfffe
	s_and_not1_saveexec_b32 s2, s26
	s_cbranch_execz .LBB0_6
; %bb.5:                                ;   in Loop: Header=BB0_2 Depth=1
	v_cvt_f32_u32_e32 v4, s24
	s_sub_co_i32 s26, 0, s24
	v_mov_b32_e32 v173, v3
	s_delay_alu instid0(VALU_DEP_2) | instskip(NEXT) | instid1(TRANS32_DEP_1)
	v_rcp_iflag_f32_e32 v4, v4
	v_mul_f32_e32 v4, 0x4f7ffffe, v4
	s_delay_alu instid0(VALU_DEP_1) | instskip(SKIP_1) | instid1(VALU_DEP_1)
	v_cvt_u32_f32_e32 v4, v4
	s_wait_alu 0xfffe
	v_mul_lo_u32 v7, s26, v4
	s_delay_alu instid0(VALU_DEP_1) | instskip(NEXT) | instid1(VALU_DEP_1)
	v_mul_hi_u32 v7, v4, v7
	v_add_nc_u32_e32 v4, v4, v7
	s_delay_alu instid0(VALU_DEP_1) | instskip(NEXT) | instid1(VALU_DEP_1)
	v_mul_hi_u32 v4, v5, v4
	v_mul_lo_u32 v7, v4, s24
	v_add_nc_u32_e32 v8, 1, v4
	s_delay_alu instid0(VALU_DEP_2) | instskip(NEXT) | instid1(VALU_DEP_1)
	v_sub_nc_u32_e32 v7, v5, v7
	v_subrev_nc_u32_e32 v9, s24, v7
	v_cmp_le_u32_e32 vcc_lo, s24, v7
	s_wait_alu 0xfffd
	s_delay_alu instid0(VALU_DEP_2) | instskip(NEXT) | instid1(VALU_DEP_1)
	v_dual_cndmask_b32 v7, v7, v9 :: v_dual_cndmask_b32 v4, v4, v8
	v_cmp_le_u32_e32 vcc_lo, s24, v7
	s_delay_alu instid0(VALU_DEP_2) | instskip(SKIP_1) | instid1(VALU_DEP_1)
	v_add_nc_u32_e32 v8, 1, v4
	s_wait_alu 0xfffd
	v_cndmask_b32_e32 v172, v4, v8, vcc_lo
.LBB0_6:                                ;   in Loop: Header=BB0_2 Depth=1
	s_wait_alu 0xfffe
	s_or_b32 exec_lo, exec_lo, s2
	v_mul_lo_u32 v4, v173, s24
	s_delay_alu instid0(VALU_DEP_2)
	v_mul_lo_u32 v9, v172, s25
	s_load_b64 s[26:27], s[18:19], 0x0
	v_mad_co_u64_u32 v[7:8], null, v172, s24, 0
	s_load_b64 s[24:25], s[16:17], 0x0
	s_add_nc_u64 s[20:21], s[20:21], 1
	s_add_nc_u64 s[16:17], s[16:17], 8
	s_wait_alu 0xfffe
	v_cmp_ge_u64_e64 s2, s[20:21], s[10:11]
	s_add_nc_u64 s[18:19], s[18:19], 8
	s_add_nc_u64 s[22:23], s[22:23], 8
	v_add3_u32 v4, v8, v9, v4
	v_sub_co_u32 v5, vcc_lo, v5, v7
	s_wait_alu 0xfffd
	s_delay_alu instid0(VALU_DEP_2) | instskip(SKIP_2) | instid1(VALU_DEP_1)
	v_sub_co_ci_u32_e32 v4, vcc_lo, v6, v4, vcc_lo
	s_and_b32 vcc_lo, exec_lo, s2
	s_wait_kmcnt 0x0
	v_mul_lo_u32 v6, s26, v4
	v_mul_lo_u32 v7, s27, v5
	v_mad_co_u64_u32 v[1:2], null, s26, v5, v[1:2]
	v_mul_lo_u32 v4, s24, v4
	v_mul_lo_u32 v8, s25, v5
	v_mad_co_u64_u32 v[208:209], null, s24, v5, v[208:209]
	s_delay_alu instid0(VALU_DEP_4) | instskip(NEXT) | instid1(VALU_DEP_2)
	v_add3_u32 v2, v7, v2, v6
	v_add3_u32 v209, v8, v209, v4
	s_wait_alu 0xfffe
	s_cbranch_vccnz .LBB0_9
; %bb.7:                                ;   in Loop: Header=BB0_2 Depth=1
	v_dual_mov_b32 v5, v172 :: v_dual_mov_b32 v6, v173
	s_branch .LBB0_2
.LBB0_8:
	v_dual_mov_b32 v209, v2 :: v_dual_mov_b32 v208, v1
	v_dual_mov_b32 v173, v6 :: v_dual_mov_b32 v172, v5
.LBB0_9:
	s_load_b64 s[0:1], s[0:1], 0x28
	v_mul_hi_u32 v3, 0x25ed098, v0
	s_lshl_b64 s[2:3], s[10:11], 3
                                        ; implicit-def: $vgpr216
	s_wait_kmcnt 0x0
	v_cmp_gt_u64_e32 vcc_lo, s[0:1], v[172:173]
	v_cmp_le_u64_e64 s0, s[0:1], v[172:173]
	s_delay_alu instid0(VALU_DEP_1)
	s_and_saveexec_b32 s1, s0
	s_wait_alu 0xfffe
	s_xor_b32 s0, exec_lo, s1
; %bb.10:
	v_mul_u32_u24_e32 v1, 0x6c, v3
                                        ; implicit-def: $vgpr3
	s_delay_alu instid0(VALU_DEP_1)
	v_sub_nc_u32_e32 v216, v0, v1
                                        ; implicit-def: $vgpr0
                                        ; implicit-def: $vgpr1_vgpr2
; %bb.11:
	s_wait_alu 0xfffe
	s_or_saveexec_b32 s1, s0
	s_add_nc_u64 s[10:11], s[14:15], s[2:3]
                                        ; implicit-def: $vgpr100_vgpr101
                                        ; implicit-def: $vgpr112_vgpr113
                                        ; implicit-def: $vgpr104_vgpr105
                                        ; implicit-def: $vgpr96_vgpr97
                                        ; implicit-def: $vgpr108_vgpr109
                                        ; implicit-def: $vgpr92_vgpr93
                                        ; implicit-def: $vgpr76_vgpr77
                                        ; implicit-def: $vgpr88_vgpr89
                                        ; implicit-def: $vgpr80_vgpr81
                                        ; implicit-def: $vgpr72_vgpr73
                                        ; implicit-def: $vgpr84_vgpr85
                                        ; implicit-def: $vgpr64_vgpr65
                                        ; implicit-def: $vgpr44_vgpr45
                                        ; implicit-def: $vgpr60_vgpr61
                                        ; implicit-def: $vgpr52_vgpr53
                                        ; implicit-def: $vgpr40_vgpr41
                                        ; implicit-def: $vgpr56_vgpr57
                                        ; implicit-def: $vgpr28_vgpr29
                                        ; implicit-def: $vgpr36_vgpr37
                                        ; implicit-def: $vgpr24_vgpr25
                                        ; implicit-def: $vgpr12_vgpr13
                                        ; implicit-def: $vgpr68_vgpr69
                                        ; implicit-def: $vgpr120_vgpr121
                                        ; implicit-def: $vgpr48_vgpr49
                                        ; implicit-def: $vgpr32_vgpr33
                                        ; implicit-def: $vgpr116_vgpr117
                                        ; implicit-def: $vgpr20_vgpr21
                                        ; implicit-def: $vgpr16_vgpr17
                                        ; implicit-def: $vgpr8_vgpr9
                                        ; implicit-def: $vgpr4_vgpr5
	s_wait_alu 0xfffe
	s_xor_b32 exec_lo, exec_lo, s1
	s_cbranch_execz .LBB0_13
; %bb.12:
	s_add_nc_u64 s[2:3], s[12:13], s[2:3]
	v_lshlrev_b64_e32 v[1:2], 4, v[1:2]
	s_load_b64 s[2:3], s[2:3], 0x0
	s_wait_kmcnt 0x0
	v_mul_lo_u32 v6, s3, v172
	v_mul_lo_u32 v7, s2, v173
	v_mad_co_u64_u32 v[4:5], null, s2, v172, 0
	s_delay_alu instid0(VALU_DEP_1) | instskip(SKIP_1) | instid1(VALU_DEP_2)
	v_add3_u32 v5, v5, v7, v6
	v_mul_u32_u24_e32 v6, 0x6c, v3
	v_lshlrev_b64_e32 v[3:4], 4, v[4:5]
	s_delay_alu instid0(VALU_DEP_2) | instskip(NEXT) | instid1(VALU_DEP_2)
	v_sub_nc_u32_e32 v216, v0, v6
	v_add_co_u32 v0, s0, s4, v3
	s_wait_alu 0xf1ff
	s_delay_alu instid0(VALU_DEP_3) | instskip(NEXT) | instid1(VALU_DEP_3)
	v_add_co_ci_u32_e64 v3, s0, s5, v4, s0
	v_lshlrev_b32_e32 v4, 4, v216
	s_delay_alu instid0(VALU_DEP_3) | instskip(SKIP_1) | instid1(VALU_DEP_3)
	v_add_co_u32 v0, s0, v0, v1
	s_wait_alu 0xf1ff
	v_add_co_ci_u32_e64 v1, s0, v3, v2, s0
	s_delay_alu instid0(VALU_DEP_2) | instskip(SKIP_1) | instid1(VALU_DEP_2)
	v_add_co_u32 v0, s0, v0, v4
	s_wait_alu 0xf1ff
	v_add_co_ci_u32_e64 v1, s0, 0, v1, s0
	s_clause 0x1d
	global_load_b128 v[2:5], v[0:1], off
	global_load_b128 v[18:21], v[0:1], off offset:1728
	global_load_b128 v[6:9], v[0:1], off offset:17280
	;; [unrolled: 1-line block ×29, first 2 shown]
.LBB0_13:
	s_or_b32 exec_lo, exec_lo, s1
	s_wait_loadcnt 0x18
	v_add_f64_e32 v[0:1], v[30:31], v[114:115]
	s_wait_loadcnt 0x13
	v_add_f64_e32 v[122:123], v[66:67], v[118:119]
	;; [unrolled: 2-line block ×4, first 2 shown]
	v_add_f64_e32 v[128:129], v[14:15], v[6:7]
	s_wait_loadcnt 0xc
	v_add_f64_e32 v[130:131], v[42:43], v[58:59]
	s_wait_loadcnt 0x7
	;; [unrolled: 2-line block ×5, first 2 shown]
	v_add_f64_e32 v[138:139], v[98:99], v[110:111]
	v_add_f64_e32 v[140:141], v[114:115], v[18:19]
	v_add_f64_e64 v[142:143], v[116:117], -v[32:33]
	v_add_f64_e32 v[152:153], v[54:55], v[26:27]
	v_add_f64_e32 v[162:163], v[82:83], v[62:63]
	v_add_f64_e32 v[144:145], v[118:119], v[46:47]
	v_add_f64_e64 v[146:147], v[120:121], -v[68:69]
	v_add_f64_e32 v[156:157], v[6:7], v[2:3]
	;; [unrolled: 4-line block ×3, first 2 shown]
	v_add_f64_e32 v[166:167], v[106:107], v[90:91]
	v_add_f64_e64 v[154:155], v[56:57], -v[40:41]
	v_add_f64_e64 v[158:159], v[8:9], -v[16:17]
	s_mov_b32 s2, 0xe8584caa
	s_mov_b32 s3, 0x3febb67a
	v_add_f64_e64 v[114:115], v[114:115], -v[30:31]
	v_add_f64_e64 v[118:119], v[118:119], -v[66:67]
	s_mov_b32 s5, 0xbfebb67a
	s_wait_alu 0xfffe
	s_mov_b32 s4, s2
	s_load_b64 s[10:11], s[10:11], 0x0
	v_lshl_add_u32 v214, v216, 3, 0
	v_add_nc_u16 v195, v216, 0x6c
	v_add_nc_u32_e32 v187, 0xd8, v216
	v_add_nc_u32_e32 v185, 0x144, v216
	;; [unrolled: 1-line block ×5, first 2 shown]
	v_fma_f64 v[0:1], v[0:1], -0.5, v[18:19]
	v_fma_f64 v[18:19], v[122:123], -0.5, v[46:47]
	;; [unrolled: 1-line block ×5, first 2 shown]
	v_add_f64_e64 v[122:123], v[60:61], -v[44:45]
	v_fma_f64 v[50:51], v[130:131], -0.5, v[50:51]
	v_add_f64_e64 v[124:125], v[84:85], -v[72:73]
	v_fma_f64 v[126:127], v[132:133], -0.5, v[62:63]
	;; [unrolled: 2-line block ×4, first 2 shown]
	v_add_f64_e32 v[134:135], v[110:111], v[102:103]
	v_add_f64_e64 v[132:133], v[112:113], -v[100:101]
	v_fma_f64 v[102:103], v[138:139], -0.5, v[102:103]
	v_add_f64_e32 v[30:31], v[30:31], v[140:141]
	v_add_f64_e32 v[140:141], v[38:39], v[152:153]
	;; [unrolled: 1-line block ×11, first 2 shown]
	v_mad_u32_u24 v62, v216, 24, 0
	v_add_f64_e32 v[136:137], v[120:121], v[48:49]
	v_add_f64_e32 v[120:121], v[68:69], v[120:121]
	v_add_f64_e64 v[70:71], v[82:83], -v[70:71]
	v_add_f64_e64 v[74:75], v[86:87], -v[74:75]
	v_add_nc_u32_e32 v174, 0x1e60, v62
	v_add_nc_u32_e32 v175, 0x2880, v62
	;; [unrolled: 1-line block ×6, first 2 shown]
	v_fma_f64 v[162:163], v[142:143], s[2:3], v[0:1]
	v_fma_f64 v[164:165], v[146:147], s[2:3], v[18:19]
	;; [unrolled: 1-line block ×18, first 2 shown]
	v_add_f64_e32 v[130:131], v[98:99], v[134:135]
	v_fma_f64 v[134:135], v[132:133], s[2:3], v[102:103]
	v_fma_f64 v[102:103], v[132:133], s[4:5], v[102:103]
	v_add_f64_e32 v[132:133], v[16:17], v[8:9]
	v_add_nc_u32_e32 v158, 0xa20, v62
	v_add_nc_u32_e32 v159, 0x1440, v62
	v_add_f64_e32 v[146:147], v[36:37], v[24:25]
	v_add_f64_e32 v[150:151], v[40:41], v[56:57]
	;; [unrolled: 1-line block ×3, first 2 shown]
	v_fma_f64 v[46:47], v[116:117], -0.5, v[20:21]
	v_add_f64_e32 v[20:21], v[76:77], v[88:89]
	v_add_nc_u32_e32 v180, 0x5b28, v62
	v_fma_f64 v[48:49], v[120:121], -0.5, v[48:49]
	v_add_f64_e32 v[120:121], v[56:57], v[28:29]
	v_add_f64_e64 v[86:87], v[106:107], -v[94:95]
	v_add_f64_e64 v[94:95], v[110:111], -v[98:99]
	v_add_f64_e32 v[82:83], v[108:109], v[92:93]
	v_add_f64_e32 v[68:69], v[68:69], v[136:137]
	v_add_nc_u32_e32 v222, 0x3400, v214
	v_add_nc_u32_e32 v223, 0x5400, v214
	ds_store_2addr_b64 v158, v[30:31], v[162:163] offset1:1
	ds_store_2addr_b64 v159, v[66:67], v[164:165] offset1:1
	;; [unrolled: 1-line block ×5, first 2 shown]
	ds_store_b64 v62, v[2:3] offset:16
	ds_store_b64 v62, v[0:1] offset:2608
	;; [unrolled: 1-line block ×6, first 2 shown]
	ds_store_2addr_b64 v176, v[142:143], v[50:51] offset1:1
	ds_store_b64 v62, v[152:153] offset:15552
	ds_store_2addr_b64 v177, v[122:123], v[124:125] offset1:1
	ds_store_b64 v62, v[156:157] offset:18144
	;; [unrolled: 2-line block ×4, first 2 shown]
	v_add_f64_e32 v[10:11], v[44:45], v[60:61]
	v_add_f64_e32 v[18:19], v[72:73], v[84:85]
	;; [unrolled: 1-line block ×4, first 2 shown]
	v_add_f64_e64 v[66:67], v[6:7], -v[14:15]
	v_add_f64_e32 v[26:27], v[96:97], v[108:109]
	v_add_f64_e32 v[60:61], v[60:61], v[52:53]
	v_add_f64_e64 v[122:123], v[54:55], -v[38:39]
	v_add_f64_e64 v[126:127], v[58:59], -v[42:43]
	v_add_f64_e32 v[84:85], v[84:85], v[64:65]
	v_add_f64_e32 v[90:91], v[24:25], v[12:13]
	v_add_nc_u32_e32 v189, 0x1800, v214
	v_add_nc_u32_e32 v191, 0x3c00, v214
	v_and_b32_e32 v136, 0xff, v216
	v_add_nc_u32_e32 v218, 0x400, v214
	v_add_nc_u32_e32 v190, 0x5c00, v214
	;; [unrolled: 1-line block ×5, first 2 shown]
	ds_store_2addr_b64 v180, v[134:135], v[102:103] offset1:1
	v_fma_f64 v[78:79], v[132:133], -0.5, v[4:5]
	v_add_f64_e64 v[102:103], v[22:23], -v[34:35]
	global_wb scope:SCOPE_SE
	s_wait_dscnt 0x0
	v_fma_f64 v[116:117], v[146:147], -0.5, v[12:13]
	v_fma_f64 v[124:125], v[150:151], -0.5, v[28:29]
	s_wait_kmcnt 0x0
	s_barrier_signal -1
	s_barrier_wait -1
	global_inv scope:SCOPE_SE
	ds_load_2addr_b64 v[0:3], v214 offset1:108
	v_fma_f64 v[108:109], v[118:119], s[4:5], v[48:49]
	v_add_f64_e32 v[110:111], v[40:41], v[120:121]
	v_fma_f64 v[118:119], v[118:119], s[2:3], v[48:49]
	v_add_nc_u32_e32 v192, 0x2c00, v214
	v_add_nc_u32_e32 v193, 0x5000, v214
	;; [unrolled: 1-line block ×3, first 2 shown]
	ds_load_2addr_b64 v[56:59], v215 offset0:56 offset1:164
	v_and_b32_e32 v197, 0xff, v195
	v_and_b32_e32 v196, 0xffff, v187
	v_fma_f64 v[128:129], v[10:11], -0.5, v[52:53]
	v_fma_f64 v[18:19], v[18:19], -0.5, v[64:65]
	v_add_f64_e32 v[63:64], v[88:89], v[80:81]
	v_add_f64_e32 v[88:89], v[112:113], v[104:105]
	v_fma_f64 v[98:99], v[30:31], -0.5, v[104:105]
	v_add_f64_e32 v[104:105], v[16:17], v[50:51]
	v_fma_f64 v[80:81], v[20:21], -0.5, v[80:81]
	v_fma_f64 v[92:93], v[26:27], -0.5, v[92:93]
	v_add_f64_e32 v[60:61], v[44:45], v[60:61]
	v_add_f64_e32 v[72:73], v[72:73], v[84:85]
	;; [unrolled: 1-line block ×3, first 2 shown]
	ds_load_2addr_b64 v[52:55], v217 offset0:112 offset1:220
	ds_load_2addr_b64 v[12:15], v218 offset0:88 offset1:196
	;; [unrolled: 1-line block ×10, first 2 shown]
	v_and_b32_e32 v186, 0xffff, v185
	v_and_b32_e32 v184, 0xffff, v194
	s_mov_b32 s18, 0x134454ff
	s_mov_b32 s19, 0x3fee6f0e
	;; [unrolled: 1-line block ×4, first 2 shown]
	v_fma_f64 v[106:107], v[66:67], s[4:5], v[78:79]
	v_fma_f64 v[65:66], v[66:67], s[2:3], v[78:79]
	;; [unrolled: 1-line block ×8, first 2 shown]
	s_mov_b32 s20, 0x4755a5e
	s_mov_b32 s21, 0x3fe2cf23
	;; [unrolled: 1-line block ×3, first 2 shown]
	s_wait_alu 0xfffe
	s_mov_b32 s12, s20
	s_mov_b32 s14, 0x372fe950
	s_mov_b32 s15, 0x3fd3c6ef
	s_mov_b32 s16, 0x9b97f4a8
	s_mov_b32 s17, 0x3fe9e377
	v_fma_f64 v[84:85], v[126:127], s[4:5], v[128:129]
	v_fma_f64 v[122:123], v[126:127], s[2:3], v[128:129]
	;; [unrolled: 1-line block ×4, first 2 shown]
	ds_load_2addr_b64 v[16:19], v189 offset0:96 offset1:204
	ds_load_2addr_b64 v[48:51], v191 offset0:24 offset1:132
	;; [unrolled: 1-line block ×3, first 2 shown]
	global_wb scope:SCOPE_SE
	s_wait_dscnt 0x0
	s_barrier_signal -1
	s_barrier_wait -1
	global_inv scope:SCOPE_SE
	ds_store_2addr_b64 v62, v[104:105], v[106:107] offset1:1
	ds_store_b64 v62, v[65:66] offset:16
	v_mul_lo_u16 v65, 0xab, v136
	v_add_f64_e32 v[63:64], v[76:77], v[63:64]
	v_fma_f64 v[76:77], v[74:75], s[4:5], v[80:81]
	v_fma_f64 v[74:75], v[74:75], s[2:3], v[80:81]
	v_add_f64_e32 v[80:81], v[96:97], v[82:83]
	v_add_f64_e32 v[82:83], v[100:101], v[88:89]
	v_fma_f64 v[88:89], v[86:87], s[4:5], v[92:93]
	v_fma_f64 v[86:87], v[86:87], s[2:3], v[92:93]
	;; [unrolled: 1-line block ×4, first 2 shown]
	v_lshrrev_b16 v140, 9, v65
	v_mul_lo_u16 v65, 0xab, v197
	ds_store_2addr_b64 v158, v[154:155], v[78:79] offset1:1
	ds_store_2addr_b64 v159, v[68:69], v[108:109] offset1:1
	;; [unrolled: 1-line block ×4, first 2 shown]
	ds_store_b64 v62, v[114:115] offset:2608
	ds_store_b64 v62, v[118:119] offset:5200
	;; [unrolled: 1-line block ×4, first 2 shown]
	v_add_nc_u32_e32 v108, 0x360, v216
	v_mul_lo_u16 v66, v140, 3
	v_lshrrev_b16 v138, 9, v65
	ds_store_b64 v62, v[60:61] offset:12960
	ds_store_2addr_b64 v176, v[84:85], v[122:123] offset1:1
	ds_store_b64 v62, v[72:73] offset:15552
	ds_store_2addr_b64 v177, v[124:125], v[70:71] offset1:1
	;; [unrolled: 2-line block ×3, first 2 shown]
	v_mul_lo_u16 v60, v138, 3
	v_sub_nc_u16 v61, v216, v66
	ds_store_b64 v62, v[80:81] offset:20736
	ds_store_2addr_b64 v179, v[88:89], v[86:87] offset1:1
	ds_store_b64 v62, v[82:83] offset:23328
	ds_store_2addr_b64 v180, v[92:93], v[94:95] offset1:1
	v_sub_nc_u16 v60, v195, v60
	v_and_b32_e32 v137, 0xff, v61
	v_mul_u32_u24_e32 v61, 0xaaab, v186
	v_mul_u32_u24_e32 v63, 0xaaab, v184
	global_wb scope:SCOPE_SE
	s_wait_dscnt 0x0
	v_and_b32_e32 v139, 0xff, v60
	v_mul_u32_u24_e32 v60, 0xaaab, v196
	v_lshrrev_b32_e32 v141, 17, v61
	v_lshlrev_b32_e32 v62, 5, v137
	s_barrier_signal -1
	v_lshlrev_b32_e32 v76, 5, v139
	v_lshrrev_b32_e32 v144, 17, v60
	v_mul_lo_u16 v61, v141, 3
	s_barrier_wait -1
	global_inv scope:SCOPE_SE
	v_lshrrev_b32_e32 v145, 17, v63
	v_mul_lo_u16 v60, v144, 3
	v_sub_nc_u16 v61, v185, v61
	s_clause 0x1
	global_load_b128 v[68:71], v62, s[8:9]
	global_load_b128 v[64:67], v62, s[8:9] offset:16
	v_add_nc_u32_e32 v92, 0x21c, v216
	v_add_nc_u32_e32 v93, 0x288, v216
	v_sub_nc_u16 v60, v187, v60
	v_and_b32_e32 v143, 0xffff, v61
	v_add_nc_u32_e32 v94, 0x2f4, v216
	v_and_b32_e32 v78, 0xffff, v92
	v_and_b32_e32 v95, 0xffff, v93
	;; [unrolled: 1-line block ×3, first 2 shown]
	s_clause 0x1
	global_load_b128 v[72:75], v76, s[8:9]
	global_load_b128 v[60:63], v76, s[8:9] offset:16
	v_and_b32_e32 v96, 0xffff, v94
	v_mul_u32_u24_e32 v82, 0xaaab, v78
	v_mul_lo_u16 v77, v145, 3
	v_lshlrev_b32_e32 v76, 5, v142
	v_mul_u32_u24_e32 v95, 0xaaab, v95
	v_mul_u32_u24_e32 v96, 0xaaab, v96
	v_lshrrev_b32_e32 v160, 17, v82
	v_add_nc_u32_e32 v109, 0x3cc, v216
	v_sub_nc_u16 v81, v194, v77
	s_clause 0x1
	global_load_b128 v[88:91], v76, s[8:9]
	global_load_b128 v[76:79], v76, s[8:9] offset:16
	v_lshrrev_b32_e32 v161, 17, v95
	v_and_b32_e32 v95, 0xffff, v108
	v_mul_lo_u16 v97, v160, 3
	v_lshrrev_b32_e32 v162, 17, v96
	v_and_b32_e32 v96, 0xffff, v109
	v_and_b32_e32 v146, 0xffff, v81
	v_mul_u32_u24_e32 v95, 0xaaab, v95
	v_sub_nc_u16 v92, v92, v97
	v_mul_lo_u16 v97, v162, 3
	v_mul_u32_u24_e32 v96, 0xaaab, v96
	v_lshlrev_b32_e32 v80, 5, v143
	v_lshrrev_b32_e32 v228, 17, v95
	v_and_b32_e32 v164, 0xffff, v92
	v_mul_lo_u16 v92, v161, 3
	v_lshrrev_b32_e32 v147, 17, v96
	v_sub_nc_u16 v97, v94, v97
	v_mul_lo_u16 v110, v228, 3
	v_lshlrev_b32_e32 v100, 5, v146
	v_sub_nc_u16 v98, v93, v92
	v_mul_lo_u16 v121, v147, 3
	v_lshlrev_b32_e32 v104, 5, v164
	v_sub_nc_u16 v124, v108, v110
	v_and_b32_e32 v230, 0xffff, v97
	v_and_b32_e32 v165, 0xffff, v98
	v_sub_nc_u16 v125, v109, v121
	s_clause 0x1
	global_load_b128 v[84:87], v80, s[8:9]
	global_load_b128 v[80:83], v80, s[8:9] offset:16
	v_and_b32_e32 v231, 0xffff, v124
	s_clause 0x3
	global_load_b128 v[92:95], v104, s[8:9]
	global_load_b128 v[96:99], v100, s[8:9]
	global_load_b128 v[100:103], v100, s[8:9] offset:16
	global_load_b128 v[104:107], v104, s[8:9] offset:16
	v_lshlrev_b32_e32 v111, 5, v165
	v_and_b32_e32 v232, 0xffff, v125
	v_lshlrev_b32_e32 v120, 5, v230
	v_lshlrev_b32_e32 v132, 5, v231
	s_clause 0x3
	global_load_b128 v[112:115], v111, s[8:9]
	global_load_b128 v[116:119], v120, s[8:9]
	global_load_b128 v[108:111], v111, s[8:9] offset:16
	global_load_b128 v[120:123], v120, s[8:9] offset:16
	v_lshlrev_b32_e32 v148, 5, v232
	s_clause 0x3
	global_load_b128 v[124:127], v132, s[8:9]
	global_load_b128 v[128:131], v148, s[8:9]
	global_load_b128 v[132:135], v132, s[8:9] offset:16
	global_load_b128 v[148:151], v148, s[8:9] offset:16
	ds_load_2addr_b64 v[152:155], v215 offset0:56 offset1:164
	ds_load_2addr_b64 v[156:159], v217 offset0:112 offset1:220
	v_mul_u32_u24_e32 v170, 0x48, v160
	v_mul_u32_u24_e32 v174, 0x48, v161
	;; [unrolled: 1-line block ×3, first 2 shown]
	ds_load_2addr_b64 v[160:163], v219 offset0:16 offset1:124
	v_and_b32_e32 v140, 0xffff, v140
	v_lshlrev_b32_e32 v137, 3, v137
	v_and_b32_e32 v138, 0xffff, v138
	v_mul_u32_u24_e32 v166, 0x48, v144
	v_mul_u32_u24_e32 v168, 0x48, v141
	;; [unrolled: 1-line block ×4, first 2 shown]
	v_lshlrev_b32_e32 v171, 3, v143
	v_lshlrev_b32_e32 v146, 3, v146
	;; [unrolled: 1-line block ×3, first 2 shown]
	v_add3_u32 v234, 0, v140, v137
	v_lshlrev_b32_e32 v137, 3, v142
	v_lshlrev_b32_e32 v176, 3, v165
	ds_load_2addr_b64 v[142:145], v192 offset0:104 offset1:212
	v_add3_u32 v137, 0, v166, v137
	ds_load_2addr_b64 v[164:167], v193 offset0:32 offset1:140
	s_wait_loadcnt_dscnt 0x1304
	v_mul_f64_e32 v[178:179], v[152:153], v[70:71]
	v_mul_f64_e32 v[70:71], v[56:57], v[70:71]
	s_wait_loadcnt_dscnt 0x1203
	v_mul_f64_e32 v[182:183], v[156:157], v[66:67]
	v_mul_f64_e32 v[198:199], v[52:53], v[66:67]
	v_mul_u32_u24_e32 v66, 0x48, v138
	v_lshlrev_b32_e32 v67, 3, v139
	ds_load_2addr_b64 v[138:141], v220 offset0:72 offset1:180
	s_wait_loadcnt 0x11
	v_mul_f64_e32 v[180:181], v[154:155], v[74:75]
	v_mul_f64_e32 v[74:75], v[58:59], v[74:75]
	s_wait_loadcnt 0x10
	v_mul_f64_e32 v[200:201], v[158:159], v[62:63]
	v_mul_f64_e32 v[202:203], v[54:55], v[62:63]
	v_add3_u32 v235, 0, v66, v67
	v_add3_u32 v67, 0, v168, v171
	;; [unrolled: 1-line block ×4, first 2 shown]
	ds_load_2addr_b64 v[168:171], v222 offset0:64 offset1:172
	v_add3_u32 v63, 0, v174, v176
	s_wait_loadcnt_dscnt 0xf04
	v_mul_f64_e32 v[204:205], v[160:161], v[90:91]
	v_mul_f64_e32 v[90:91], v[32:33], v[90:91]
	ds_load_2addr_b64 v[174:177], v223 offset0:120 offset1:228
	v_lshlrev_b32_e32 v146, 3, v231
	s_wait_loadcnt_dscnt 0xe02
	v_mul_f64_e32 v[210:211], v[138:139], v[78:79]
	v_mul_f64_e32 v[78:79], v[28:29], v[78:79]
	v_fma_f64 v[178:179], v[56:57], v[68:69], -v[178:179]
	v_fma_f64 v[152:153], v[152:153], v[68:69], v[70:71]
	ds_load_2addr_b64 v[68:71], v191 offset0:24 offset1:132
	v_fma_f64 v[182:183], v[52:53], v[64:65], -v[182:183]
	v_fma_f64 v[64:65], v[156:157], v[64:65], v[198:199]
	v_mul_u32_u24_e32 v52, 0x48, v228
	v_lshlrev_b32_e32 v53, 3, v230
	s_wait_loadcnt 0xd
	v_mul_f64_e32 v[206:207], v[162:163], v[86:87]
	s_wait_loadcnt 0xc
	v_mul_f64_e32 v[212:213], v[140:141], v[82:83]
	v_fma_f64 v[180:181], v[58:59], v[72:73], -v[180:181]
	ds_load_2addr_b64 v[56:59], v190 offset0:80 offset1:188
	s_wait_loadcnt 0xa
	v_mul_f64_e32 v[224:225], v[142:143], v[98:99]
	v_fma_f64 v[72:73], v[154:155], v[72:73], v[74:75]
	s_wait_loadcnt 0x9
	v_mul_f64_e32 v[74:75], v[164:165], v[102:103]
	v_mul_f64_e32 v[226:227], v[144:145], v[94:95]
	s_wait_loadcnt 0x8
	v_mul_f64_e32 v[154:155], v[166:167], v[106:107]
	v_fma_f64 v[54:55], v[54:55], v[60:61], -v[200:201]
	v_fma_f64 v[60:61], v[158:159], v[60:61], v[202:203]
	v_mul_f64_e32 v[86:87], v[34:35], v[86:87]
	s_wait_loadcnt_dscnt 0x703
	v_mul_f64_e32 v[156:157], v[168:169], v[114:115]
	s_wait_loadcnt_dscnt 0x502
	v_mul_f64_e32 v[200:201], v[174:175], v[110:111]
	v_mul_f64_e32 v[198:199], v[170:171], v[118:119]
	s_wait_loadcnt 0x4
	v_mul_f64_e32 v[228:229], v[176:177], v[122:123]
	s_wait_loadcnt_dscnt 0x301
	v_mul_f64_e32 v[158:159], v[68:69], v[126:127]
	v_fma_f64 v[204:205], v[32:33], v[88:89], -v[204:205]
	s_wait_loadcnt 0x2
	v_mul_f64_e32 v[202:203], v[70:71], v[130:131]
	v_fma_f64 v[88:89], v[160:161], v[88:89], v[90:91]
	v_mul_f64_e32 v[82:83], v[30:31], v[82:83]
	v_mul_f64_e32 v[98:99], v[24:25], v[98:99]
	;; [unrolled: 1-line block ×3, first 2 shown]
	s_wait_loadcnt_dscnt 0x100
	v_mul_f64_e32 v[32:33], v[56:57], v[134:135]
	s_wait_loadcnt 0x0
	v_mul_f64_e32 v[90:91], v[58:59], v[150:151]
	v_mul_f64_e32 v[106:107], v[22:23], v[106:107]
	;; [unrolled: 1-line block ×11, first 2 shown]
	v_add3_u32 v52, 0, v52, v146
	v_add3_u32 v53, 0, v233, v53
	v_fma_f64 v[160:161], v[34:35], v[84:85], -v[206:207]
	v_fma_f64 v[206:207], v[28:29], v[76:77], -v[210:211]
	;; [unrolled: 1-line block ×3, first 2 shown]
	v_fma_f64 v[76:77], v[138:139], v[76:77], v[78:79]
	v_fma_f64 v[212:213], v[24:25], v[96:97], -v[224:225]
	v_fma_f64 v[74:75], v[20:21], v[100:101], -v[74:75]
	;; [unrolled: 1-line block ×4, first 2 shown]
	v_mul_u32_u24_e32 v20, 0x48, v147
	v_lshlrev_b32_e32 v21, 3, v232
	v_fma_f64 v[84:85], v[162:163], v[84:85], v[86:87]
	v_fma_f64 v[40:41], v[40:41], v[112:113], -v[156:157]
	v_fma_f64 v[156:157], v[36:37], v[108:109], -v[200:201]
	;; [unrolled: 1-line block ×5, first 2 shown]
	v_add3_u32 v236, 0, v20, v21
	v_fma_f64 v[50:51], v[50:51], v[128:129], -v[202:203]
	ds_load_2addr_b64 v[20:23], v214 offset1:108
	v_fma_f64 v[78:79], v[140:141], v[80:81], v[82:83]
	v_fma_f64 v[80:81], v[142:143], v[96:97], v[98:99]
	;; [unrolled: 1-line block ×3, first 2 shown]
	v_fma_f64 v[44:45], v[44:45], v[132:133], -v[32:33]
	v_fma_f64 v[46:47], v[46:47], v[148:149], -v[90:91]
	v_fma_f64 v[94:95], v[166:167], v[104:105], v[106:107]
	v_fma_f64 v[90:91], v[168:169], v[112:113], v[114:115]
	;; [unrolled: 1-line block ×9, first 2 shown]
	v_add_f64_e32 v[96:97], v[178:179], v[182:183]
	v_fma_f64 v[82:83], v[164:165], v[100:101], v[102:103]
	v_add_f64_e32 v[98:99], v[180:181], v[54:55]
	v_add_f64_e32 v[100:101], v[152:153], v[64:65]
	ds_load_2addr_b64 v[24:27], v218 offset0:88 offset1:196
	v_add_f64_e32 v[104:105], v[204:205], v[206:207]
	v_add_f64_e32 v[106:107], v[160:161], v[210:211]
	;; [unrolled: 1-line block ×3, first 2 shown]
	ds_load_2addr_b64 v[28:31], v188 offset0:48 offset1:156
	ds_load_2addr_b64 v[32:35], v221 offset0:136 offset1:244
	v_add_f64_e32 v[102:103], v[72:73], v[60:61]
	v_add_f64_e32 v[112:113], v[212:213], v[74:75]
	ds_load_2addr_b64 v[36:39], v189 offset0:96 offset1:204
	v_add_f64_e32 v[114:115], v[224:225], v[154:155]
	v_add_f64_e32 v[116:117], v[0:1], v[178:179]
	v_add_f64_e64 v[122:123], v[152:153], -v[64:65]
	v_add_f64_e32 v[124:125], v[2:3], v[180:181]
	s_wait_dscnt 0x4
	v_add_f64_e32 v[132:133], v[22:23], v[72:73]
	v_add_f64_e32 v[118:119], v[40:41], v[156:157]
	v_add_f64_e64 v[72:73], v[72:73], -v[60:61]
	v_add_f64_e32 v[120:121], v[42:43], v[198:199]
	v_add_f64_e32 v[134:135], v[12:13], v[204:205]
	v_add_f64_e64 v[138:139], v[88:89], -v[76:77]
	v_add_f64_e32 v[140:141], v[14:15], v[160:161]
	v_add_f64_e32 v[148:149], v[8:9], v[212:213]
	;; [unrolled: 1-line block ×3, first 2 shown]
	s_wait_dscnt 0x3
	v_add_f64_e32 v[146:147], v[26:27], v[84:85]
	v_add_f64_e64 v[84:85], v[84:85], -v[78:79]
	v_add_f64_e32 v[128:129], v[48:49], v[44:45]
	v_add_f64_e32 v[130:131], v[50:51], v[46:47]
	;; [unrolled: 1-line block ×3, first 2 shown]
	s_wait_dscnt 0x1
	v_add_f64_e32 v[202:203], v[32:33], v[90:91]
	v_add_f64_e32 v[126:127], v[20:21], v[152:153]
	v_add_f64_e64 v[168:169], v[90:91], -v[108:109]
	v_add_f64_e32 v[200:201], v[90:91], v[108:109]
	v_add_f64_e32 v[90:91], v[92:93], v[110:111]
	;; [unrolled: 1-line block ×5, first 2 shown]
	v_fma_f64 v[0:1], v[96:97], -0.5, v[0:1]
	v_add_f64_e32 v[96:97], v[70:71], v[58:59]
	v_add_f64_e32 v[158:159], v[80:81], v[82:83]
	v_fma_f64 v[2:3], v[98:99], -0.5, v[2:3]
	v_add_f64_e64 v[150:151], v[80:81], -v[82:83]
	v_fma_f64 v[12:13], v[104:105], -0.5, v[12:13]
	v_fma_f64 v[14:15], v[106:107], -0.5, v[14:15]
	v_add_f64_e64 v[86:87], v[86:87], -v[94:95]
	v_add_f64_e32 v[166:167], v[4:5], v[40:41]
	v_add_f64_e32 v[170:171], v[6:7], v[42:43]
	v_fma_f64 v[8:9], v[112:113], -0.5, v[8:9]
	v_add_f64_e32 v[226:227], v[34:35], v[92:93]
	v_fma_f64 v[10:11], v[114:115], -0.5, v[10:11]
	v_add_f64_e64 v[92:93], v[92:93], -v[110:111]
	v_add_f64_e32 v[174:175], v[16:17], v[48:49]
	v_add_f64_e64 v[228:229], v[68:69], -v[56:57]
	v_add_f64_e32 v[88:89], v[24:25], v[88:89]
	v_fma_f64 v[4:5], v[118:119], -0.5, v[4:5]
	v_add_f64_e64 v[178:179], v[178:179], -v[182:183]
	v_fma_f64 v[6:7], v[120:121], -0.5, v[6:7]
	v_add_f64_e64 v[98:99], v[204:205], -v[206:207]
	v_fma_f64 v[20:21], v[100:101], -0.5, v[20:21]
	v_fma_f64 v[24:25], v[142:143], -0.5, v[24:25]
	v_add_f64_e32 v[176:177], v[18:19], v[50:51]
	v_add_f64_e64 v[104:105], v[70:71], -v[58:59]
	s_wait_dscnt 0x0
	v_add_f64_e32 v[232:233], v[36:37], v[68:69]
	v_add_f64_e64 v[68:69], v[180:181], -v[54:55]
	v_fma_f64 v[16:17], v[128:129], -0.5, v[16:17]
	v_fma_f64 v[18:19], v[130:131], -0.5, v[18:19]
	v_add_f64_e32 v[112:113], v[38:39], v[70:71]
	v_add_f64_e64 v[70:71], v[160:161], -v[210:211]
	v_fma_f64 v[22:23], v[102:103], -0.5, v[22:23]
	v_fma_f64 v[26:27], v[144:145], -0.5, v[26:27]
	v_add_f64_e64 v[118:119], v[224:225], -v[154:155]
	v_add_f64_e64 v[40:41], v[40:41], -v[156:157]
	;; [unrolled: 1-line block ×5, first 2 shown]
	v_add_f64_e32 v[100:101], v[116:117], v[182:183]
	v_fma_f64 v[30:31], v[162:163], -0.5, v[30:31]
	v_fma_f64 v[128:129], v[122:123], s[2:3], v[0:1]
	v_fma_f64 v[32:33], v[200:201], -0.5, v[32:33]
	v_fma_f64 v[34:35], v[90:91], -0.5, v[34:35]
	;; [unrolled: 1-line block ×4, first 2 shown]
	v_add_f64_e32 v[80:81], v[28:29], v[80:81]
	v_add_f64_e64 v[114:115], v[212:213], -v[74:75]
	v_fma_f64 v[28:29], v[158:159], -0.5, v[28:29]
	v_fma_f64 v[0:1], v[122:123], s[4:5], v[0:1]
	v_add_f64_e32 v[54:55], v[124:125], v[54:55]
	v_fma_f64 v[122:123], v[72:73], s[2:3], v[2:3]
	v_fma_f64 v[2:3], v[72:73], s[4:5], v[2:3]
	v_add_f64_e32 v[102:103], v[134:135], v[206:207]
	v_fma_f64 v[72:73], v[138:139], s[2:3], v[12:13]
	;; [unrolled: 3-line block ×8, first 2 shown]
	v_fma_f64 v[16:17], v[228:229], s[4:5], v[16:17]
	v_add_f64_e32 v[64:65], v[126:127], v[64:65]
	v_add_f64_e32 v[126:127], v[88:89], v[76:77]
	v_fma_f64 v[144:145], v[178:179], s[4:5], v[20:21]
	v_fma_f64 v[152:153], v[98:99], s[4:5], v[24:25]
	v_add_f64_e32 v[46:47], v[176:177], v[46:47]
	v_fma_f64 v[140:141], v[104:105], s[2:3], v[18:19]
	v_add_f64_e32 v[60:61], v[132:133], v[60:61]
	v_add_f64_e32 v[132:133], v[146:147], v[78:79]
	v_fma_f64 v[146:147], v[178:179], s[2:3], v[20:21]
	v_fma_f64 v[24:25], v[98:99], s[2:3], v[24:25]
	;; [unrolled: 1-line block ×6, first 2 shown]
	global_wb scope:SCOPE_SE
	s_barrier_signal -1
	s_barrier_wait -1
	global_inv scope:SCOPE_SE
	v_fma_f64 v[26:27], v[70:71], s[2:3], v[26:27]
	ds_store_2addr_b64 v234, v[100:101], v[128:129] offset1:3
	ds_store_b64 v234, v[0:1] offset:48
	ds_store_2addr_b64 v235, v[54:55], v[122:123] offset1:3
	ds_store_b64 v235, v[2:3] offset:48
	;; [unrolled: 2-line block ×10, first 2 shown]
	v_add_f64_e32 v[44:45], v[164:165], v[94:95]
	v_fma_f64 v[46:47], v[118:119], s[4:5], v[30:31]
	v_fma_f64 v[30:31], v[118:119], s[2:3], v[30:31]
	;; [unrolled: 1-line block ×4, first 2 shown]
	v_add_f64_e32 v[40:41], v[226:227], v[110:111]
	v_fma_f64 v[94:95], v[42:43], s[4:5], v[34:35]
	v_fma_f64 v[34:35], v[42:43], s[2:3], v[34:35]
	v_add_f64_e32 v[42:43], v[232:233], v[56:57]
	v_fma_f64 v[56:57], v[48:49], s[4:5], v[36:37]
	v_fma_f64 v[36:37], v[48:49], s[2:3], v[36:37]
	v_add_f64_e32 v[48:49], v[112:113], v[58:59]
	v_fma_f64 v[58:59], v[50:51], s[4:5], v[38:39]
	v_add_f64_e32 v[142:143], v[80:81], v[82:83]
	;; [unrolled: 2-line block ×3, first 2 shown]
	v_fma_f64 v[38:39], v[50:51], s[2:3], v[38:39]
	v_fma_f64 v[28:29], v[114:115], s[2:3], v[28:29]
	v_mul_lo_u16 v50, v136, 57
	global_wb scope:SCOPE_SE
	s_wait_dscnt 0x0
	s_barrier_signal -1
	s_barrier_wait -1
	global_inv scope:SCOPE_SE
	v_lshrrev_b16 v198, 9, v50
	v_mul_lo_u16 v50, v197, 57
	ds_load_2addr_b64 v[4:7], v214 offset1:108
	ds_load_2addr_b64 v[0:3], v218 offset0:88 offset1:196
	ds_load_2addr_b64 v[90:93], v221 offset0:136 offset1:244
	;; [unrolled: 1-line block ×14, first 2 shown]
	v_lshrrev_b16 v201, 9, v50
	global_wb scope:SCOPE_SE
	s_wait_dscnt 0x0
	s_barrier_signal -1
	s_barrier_wait -1
	global_inv scope:SCOPE_SE
	ds_store_2addr_b64 v234, v[64:65], v[144:145] offset1:3
	ds_store_b64 v234, v[146:147] offset:48
	ds_store_2addr_b64 v235, v[60:61], v[148:149] offset1:3
	ds_store_b64 v235, v[150:151] offset:48
	;; [unrolled: 2-line block ×3, first 2 shown]
	ds_store_2addr_b64 v67, v[132:133], v[154:155] offset1:3
	v_mul_lo_u16 v24, v198, 9
	v_mul_lo_u16 v25, v201, 9
	ds_store_b64 v67, v[26:27] offset:48
	ds_store_2addr_b64 v66, v[142:143], v[156:157] offset1:3
	ds_store_b64 v66, v[28:29] offset:48
	ds_store_2addr_b64 v62, v[44:45], v[46:47] offset1:3
	v_sub_nc_u16 v24, v216, v24
	v_sub_nc_u16 v25, v195, v25
	ds_store_b64 v62, v[30:31] offset:48
	ds_store_2addr_b64 v63, v[54:55], v[84:85] offset1:3
	ds_store_b64 v63, v[32:33] offset:48
	ds_store_2addr_b64 v53, v[40:41], v[94:95] offset1:3
	;; [unrolled: 2-line block ×3, first 2 shown]
	v_and_b32_e32 v202, 0xff, v24
	v_and_b32_e32 v203, 0xff, v25
	ds_store_b64 v52, v[36:37] offset:48
	ds_store_2addr_b64 v236, v[48:49], v[58:59] offset1:3
	ds_store_b64 v236, v[38:39] offset:48
	global_wb scope:SCOPE_SE
	s_wait_dscnt 0x0
	v_mul_u32_u24_e32 v24, 9, v202
	v_mul_u32_u24_e32 v25, 9, v203
	s_barrier_signal -1
	s_barrier_wait -1
	global_inv scope:SCOPE_SE
	v_lshlrev_b32_e32 v60, 4, v24
	v_lshlrev_b32_e32 v48, 4, v25
	s_clause 0x7
	global_load_b128 v[108:111], v60, s[8:9] offset:112
	global_load_b128 v[116:119], v48, s[8:9] offset:112
	;; [unrolled: 1-line block ×8, first 2 shown]
	v_mul_u32_u24_e32 v24, 0xe38f, v196
	s_delay_alu instid0(VALU_DEP_1) | instskip(NEXT) | instid1(VALU_DEP_1)
	v_lshrrev_b32_e32 v199, 19, v24
	v_mul_lo_u16 v24, v199, 9
	s_delay_alu instid0(VALU_DEP_1) | instskip(NEXT) | instid1(VALU_DEP_1)
	v_sub_nc_u16 v24, v187, v24
	v_and_b32_e32 v200, 0xffff, v24
	s_delay_alu instid0(VALU_DEP_1) | instskip(SKIP_1) | instid1(VALU_DEP_2)
	v_mul_u32_u24_e32 v24, 9, v200
	v_lshlrev_b32_e32 v200, 3, v200
	v_lshlrev_b32_e32 v61, 4, v24
	s_clause 0x12
	global_load_b128 v[152:155], v48, s[8:9] offset:96
	global_load_b128 v[156:159], v61, s[8:9] offset:96
	;; [unrolled: 1-line block ×19, first 2 shown]
	ds_load_2addr_b64 v[132:135], v221 offset0:136 offset1:244
	ds_load_2addr_b64 v[168:171], v219 offset0:16 offset1:124
	;; [unrolled: 1-line block ×7, first 2 shown]
	s_wait_loadcnt_dscnt 0x1a06
	v_mul_f64_e32 v[84:85], v[132:133], v[110:111]
	v_mul_f64_e32 v[94:95], v[90:91], v[110:111]
	s_wait_loadcnt 0x19
	v_mul_f64_e32 v[110:111], v[134:135], v[118:119]
	s_wait_loadcnt 0x18
	v_mul_f64_e32 v[142:143], v[76:77], v[122:123]
	s_wait_loadcnt_dscnt 0x1604
	v_mul_f64_e32 v[244:245], v[224:225], v[130:131]
	v_mul_f64_e32 v[118:119], v[92:93], v[118:119]
	s_wait_loadcnt 0x14
	v_mul_f64_e32 v[248:249], v[226:227], v[140:141]
	v_mul_f64_e32 v[182:183], v[170:171], v[126:127]
	;; [unrolled: 1-line block ×5, first 2 shown]
	v_fma_f64 v[112:113], v[90:91], v[108:109], -v[84:85]
	v_mul_f64_e32 v[84:85], v[74:75], v[140:141]
	v_fma_f64 v[122:123], v[132:133], v[108:109], v[94:95]
	v_fma_f64 v[114:115], v[92:93], v[116:117], -v[110:111]
	s_wait_dscnt 0x3
	v_mul_f64_e32 v[90:91], v[228:229], v[146:147]
	v_mul_f64_e32 v[92:93], v[80:81], v[146:147]
	s_wait_loadcnt 0x13
	v_mul_f64_e32 v[94:95], v[230:231], v[150:151]
	v_fma_f64 v[132:133], v[168:169], v[120:121], v[142:143]
	v_mul_f64_e32 v[108:109], v[82:83], v[150:151]
	s_wait_loadcnt_dscnt 0x1202
	v_mul_f64_e32 v[146:147], v[232:233], v[154:155]
	s_wait_loadcnt 0x11
	v_mul_f64_e32 v[150:151], v[234:235], v[158:159]
	v_fma_f64 v[142:143], v[72:73], v[128:129], -v[244:245]
	v_fma_f64 v[140:141], v[74:75], v[138:139], -v[248:249]
	ds_load_2addr_b64 v[72:75], v217 offset0:112 offset1:220
	v_fma_f64 v[118:119], v[134:135], v[116:117], v[118:119]
	v_fma_f64 v[134:135], v[78:79], v[124:125], -v[182:183]
	v_fma_f64 v[130:131], v[170:171], v[124:125], v[126:127]
	v_mul_f64_e32 v[124:125], v[86:87], v[154:155]
	s_wait_loadcnt_dscnt 0x1002
	v_mul_f64_e32 v[168:169], v[238:239], v[162:163]
	v_fma_f64 v[126:127], v[224:225], v[128:129], v[246:247]
	v_mul_f64_e32 v[162:163], v[70:71], v[162:163]
	s_wait_loadcnt 0xf
	v_mul_f64_e32 v[170:171], v[236:237], v[166:167]
	v_fma_f64 v[136:137], v[76:77], v[120:121], -v[136:137]
	v_mul_f64_e32 v[158:159], v[88:89], v[158:159]
	ds_load_2addr_b64 v[76:79], v223 offset0:120 offset1:228
	s_wait_loadcnt_dscnt 0xd02
	v_mul_f64_e32 v[182:183], v[240:241], v[180:181]
	v_mul_f64_e32 v[224:225], v[104:105], v[180:181]
	s_wait_loadcnt 0xa
	v_mul_f64_e32 v[180:181], v[96:97], v[30:31]
	v_fma_f64 v[128:129], v[226:227], v[138:139], v[84:85]
	v_mul_f64_e32 v[138:139], v[68:69], v[166:167]
	v_mul_f64_e32 v[166:167], v[242:243], v[176:177]
	;; [unrolled: 1-line block ×3, first 2 shown]
	s_wait_dscnt 0x1
	v_mul_f64_e32 v[226:227], v[74:75], v[206:207]
	v_mul_f64_e32 v[206:207], v[102:103], v[206:207]
	v_fma_f64 v[120:121], v[80:81], v[144:145], -v[90:91]
	v_fma_f64 v[110:111], v[228:229], v[144:145], v[92:93]
	v_fma_f64 v[116:117], v[82:83], v[148:149], -v[94:95]
	ds_load_2addr_b64 v[80:83], v215 offset0:56 offset1:164
	v_fma_f64 v[154:155], v[86:87], v[152:153], -v[146:147]
	ds_load_2addr_b64 v[84:87], v222 offset0:64 offset1:172
	;; [unrolled: 2-line block ×3, first 2 shown]
	ds_load_2addr_b64 v[92:95], v190 offset0:80 offset1:188
	v_fma_f64 v[108:109], v[230:231], v[148:149], v[108:109]
	v_mul_f64_e32 v[228:229], v[72:73], v[26:27]
	v_fma_f64 v[144:145], v[232:233], v[152:153], v[124:125]
	s_wait_dscnt 0x4
	v_mul_f64_e32 v[230:231], v[76:77], v[30:31]
	s_wait_loadcnt 0x9
	v_mul_f64_e32 v[232:233], v[78:79], v[212:213]
	v_mul_f64_e32 v[212:213], v[98:99], v[212:213]
	v_fma_f64 v[146:147], v[70:71], v[160:161], -v[168:169]
	v_fma_f64 v[148:149], v[238:239], v[160:161], v[162:163]
	v_fma_f64 v[124:125], v[68:69], v[164:165], -v[170:171]
	s_wait_loadcnt 0x8
	v_mul_f64_e32 v[162:163], v[16:17], v[58:59]
	v_mul_f64_e32 v[168:169], v[100:101], v[26:27]
	ds_load_2addr_b64 v[68:71], v218 offset0:88 offset1:196
	v_fma_f64 v[152:153], v[234:235], v[156:157], v[158:159]
	s_wait_loadcnt 0x7
	v_mul_f64_e32 v[158:159], v[18:19], v[46:47]
	s_wait_dscnt 0x4
	v_mul_f64_e32 v[160:161], v[80:81], v[58:59]
	v_mul_f64_e32 v[156:157], v[82:83], v[46:47]
	v_fma_f64 v[46:47], v[104:105], v[178:179], -v[182:183]
	s_wait_loadcnt_dscnt 0x503
	v_mul_f64_e32 v[104:105], v[86:87], v[34:35]
	v_mul_f64_e32 v[170:171], v[22:23], v[34:35]
	s_wait_loadcnt 0x3
	v_mul_f64_e32 v[182:183], v[14:15], v[54:55]
	v_fma_f64 v[138:139], v[236:237], v[164:165], v[138:139]
	v_fma_f64 v[106:107], v[106:107], v[174:175], -v[166:167]
	v_fma_f64 v[58:59], v[242:243], v[174:175], v[176:177]
	v_mul_f64_e32 v[164:165], v[84:85], v[42:43]
	v_mul_f64_e32 v[166:167], v[20:21], v[42:43]
	s_wait_dscnt 0x2
	v_mul_f64_e32 v[174:175], v[88:89], v[38:39]
	v_mul_f64_e32 v[176:177], v[12:13], v[38:39]
	v_fma_f64 v[38:39], v[74:75], v[204:205], v[206:207]
	s_wait_loadcnt_dscnt 0x201
	v_mul_f64_e32 v[74:75], v[92:93], v[50:51]
	v_mul_f64_e32 v[50:51], v[8:9], v[50:51]
	v_fma_f64 v[42:43], v[240:241], v[178:179], v[224:225]
	v_mul_f64_e32 v[178:179], v[90:91], v[54:55]
	v_fma_f64 v[102:103], v[102:103], v[204:205], -v[226:227]
	v_mul_u32_u24_e32 v207, 0x2d0, v199
	v_fma_f64 v[54:55], v[100:101], v[24:25], -v[228:229]
	s_wait_loadcnt 0x1
	v_mul_f64_e32 v[100:101], v[94:95], v[66:67]
	v_fma_f64 v[30:31], v[96:97], v[28:29], -v[230:231]
	v_fma_f64 v[34:35], v[98:99], v[210:211], -v[232:233]
	v_mul_f64_e32 v[96:97], v[10:11], v[66:67]
	s_wait_loadcnt_dscnt 0x0
	v_mul_f64_e32 v[66:67], v[70:71], v[62:63]
	v_fma_f64 v[26:27], v[78:79], v[210:211], v[212:213]
	v_mul_f64_e32 v[62:63], v[2:3], v[62:63]
	v_fma_f64 v[28:29], v[76:77], v[28:29], v[180:181]
	v_fma_f64 v[24:25], v[72:73], v[24:25], v[168:169]
	v_add_f64_e32 v[76:77], v[132:133], v[126:127]
	v_add_f64_e64 v[180:181], v[116:117], -v[140:141]
	v_add_f64_e64 v[228:229], v[134:135], -v[114:115]
	v_fma_f64 v[16:17], v[16:17], v[56:57], -v[160:161]
	v_fma_f64 v[56:57], v[80:81], v[56:57], v[162:163]
	v_fma_f64 v[18:19], v[18:19], v[44:45], -v[156:157]
	v_fma_f64 v[44:45], v[82:83], v[44:45], v[158:159]
	;; [unrolled: 2-line block ×3, first 2 shown]
	v_add_f64_e32 v[80:81], v[122:123], v[110:111]
	v_add_f64_e32 v[82:83], v[130:131], v[128:129]
	v_add_f64_e64 v[86:87], v[112:113], -v[136:137]
	v_add_f64_e64 v[156:157], v[136:137], -v[112:113]
	;; [unrolled: 1-line block ×5, first 2 shown]
	v_fma_f64 v[20:21], v[20:21], v[40:41], -v[164:165]
	v_fma_f64 v[40:41], v[84:85], v[40:41], v[166:167]
	v_fma_f64 v[12:13], v[12:13], v[36:37], -v[174:175]
	v_fma_f64 v[36:37], v[88:89], v[36:37], v[176:177]
	v_add_f64_e32 v[84:85], v[118:119], v[108:109]
	v_fma_f64 v[8:9], v[8:9], v[48:49], -v[74:75]
	v_fma_f64 v[48:49], v[92:93], v[48:49], v[50:51]
	v_add_f64_e64 v[88:89], v[120:121], -v[142:143]
	v_fma_f64 v[14:15], v[14:15], v[52:53], -v[178:179]
	v_fma_f64 v[52:53], v[90:91], v[52:53], v[182:183]
	v_add_f64_e64 v[90:91], v[146:147], -v[106:107]
	v_add_f64_e64 v[164:165], v[58:59], -v[148:149]
	v_add_f64_e32 v[72:73], v[46:47], v[54:55]
	v_fma_f64 v[10:11], v[10:11], v[64:65], -v[100:101]
	v_add_f64_e32 v[74:75], v[124:125], v[30:31]
	v_add_f64_e64 v[92:93], v[34:35], -v[102:103]
	v_fma_f64 v[50:51], v[94:95], v[64:65], v[96:97]
	v_fma_f64 v[2:3], v[2:3], v[60:61], -v[66:67]
	v_add_f64_e32 v[64:65], v[112:113], v[120:121]
	v_fma_f64 v[60:61], v[70:71], v[60:61], v[62:63]
	v_add_f64_e32 v[62:63], v[136:137], v[142:143]
	v_add_f64_e32 v[66:67], v[134:135], v[140:141]
	;; [unrolled: 1-line block ×3, first 2 shown]
	v_add_f64_e64 v[94:95], v[148:149], -v[58:59]
	v_add_f64_e64 v[96:97], v[26:27], -v[38:39]
	;; [unrolled: 1-line block ×4, first 2 shown]
	v_add_f64_e32 v[158:159], v[42:43], v[24:25]
	v_add_f64_e32 v[160:161], v[138:139], v[28:29]
	v_add_f64_e64 v[166:167], v[38:39], -v[26:27]
	v_and_b32_e32 v79, 0xffff, v201
	v_lshlrev_b32_e32 v99, 3, v203
	v_and_b32_e32 v78, 0xffff, v198
	v_add_f64_e32 v[168:169], v[6:7], v[114:115]
	v_add_f64_e32 v[174:175], v[0:1], v[124:125]
	v_mul_u32_u24_e32 v98, 0x2d0, v79
	v_lshlrev_b32_e32 v79, 3, v202
	ds_load_2addr_b64 v[201:204], v214 offset1:108
	v_add_f64_e64 v[205:206], v[16:17], -v[20:21]
	v_add_f64_e64 v[212:213], v[56:57], -v[40:41]
	;; [unrolled: 1-line block ×4, first 2 shown]
	v_mul_u32_u24_e32 v78, 0x2d0, v78
	v_add_f64_e64 v[210:211], v[8:9], -v[12:13]
	v_add_f64_e64 v[224:225], v[48:49], -v[36:37]
	;; [unrolled: 1-line block ×4, first 2 shown]
	v_add3_u32 v79, 0, v78, v79
	v_add3_u32 v78, 0, v98, v99
	v_add_f64_e32 v[98:99], v[4:5], v[112:113]
	v_add_f64_e32 v[182:183], v[68:69], v[138:139]
	v_fma_f64 v[72:73], v[72:73], -0.5, v[0:1]
	v_fma_f64 v[0:1], v[74:75], -0.5, v[0:1]
	v_add_f64_e64 v[74:75], v[18:19], -v[22:23]
	v_add_f64_e64 v[238:239], v[10:11], -v[14:15]
	;; [unrolled: 1-line block ×3, first 2 shown]
	v_add_f64_e32 v[86:87], v[86:87], v[88:89]
	s_wait_dscnt 0x0
	v_add_f64_e32 v[176:177], v[201:202], v[122:123]
	v_add_f64_e32 v[178:179], v[203:204], v[118:119]
	v_fma_f64 v[62:63], v[62:63], -0.5, v[4:5]
	v_fma_f64 v[4:5], v[64:65], -0.5, v[4:5]
	;; [unrolled: 1-line block ×4, first 2 shown]
	v_add_f64_e64 v[66:67], v[124:125], -v[46:47]
	v_add_f64_e64 v[70:71], v[30:31], -v[54:55]
	v_fma_f64 v[76:77], v[76:77], -0.5, v[201:202]
	v_fma_f64 v[80:81], v[80:81], -0.5, v[201:202]
	v_fma_f64 v[82:83], v[82:83], -0.5, v[203:204]
	v_fma_f64 v[84:85], v[84:85], -0.5, v[203:204]
	v_add_f64_e64 v[201:202], v[44:45], -v[32:33]
	v_add_f64_e64 v[203:204], v[50:51], -v[52:53]
	v_fma_f64 v[158:159], v[158:159], -0.5, v[68:69]
	v_fma_f64 v[68:69], v[160:161], -0.5, v[68:69]
	v_add_f64_e64 v[160:161], v[46:47], -v[124:125]
	v_add_f64_e64 v[88:89], v[22:23], -v[18:19]
	v_add_f64_e32 v[90:91], v[90:91], v[92:93]
	v_add_f64_e64 v[92:93], v[14:15], -v[10:11]
	v_add_f64_e32 v[94:95], v[94:95], v[96:97]
	v_add_f64_e64 v[96:97], v[32:33], -v[44:45]
	v_add_f64_e32 v[156:157], v[156:157], v[162:163]
	v_add_f64_e64 v[162:163], v[52:53], -v[50:51]
	v_add_f64_e32 v[100:101], v[100:101], v[104:105]
	v_add_f64_e64 v[104:105], v[122:123], -v[132:133]
	v_add_f64_e32 v[164:165], v[164:165], v[166:167]
	v_add_f64_e64 v[166:167], v[110:111], -v[126:127]
	v_add_f64_e32 v[170:171], v[170:171], v[180:181]
	v_add_f64_e64 v[180:181], v[132:133], -v[122:123]
	v_add_f64_e32 v[205:206], v[205:206], v[210:211]
	v_add_f64_e64 v[210:211], v[126:127], -v[110:111]
	v_add_f64_e32 v[212:213], v[212:213], v[224:225]
	v_add_f64_e64 v[224:225], v[118:119], -v[130:131]
	v_add_f64_e32 v[228:229], v[228:229], v[230:231]
	v_add_f64_e64 v[230:231], v[108:109], -v[128:129]
	v_add_f64_e32 v[226:227], v[226:227], v[232:233]
	v_add_f64_e64 v[232:233], v[130:131], -v[118:119]
	v_add_f64_e32 v[234:235], v[234:235], v[236:237]
	v_add_f64_e64 v[236:237], v[128:129], -v[108:109]
	v_add_f64_e32 v[74:75], v[74:75], v[238:239]
	v_add_f64_e64 v[238:239], v[138:139], -v[42:43]
	v_add_f64_e32 v[98:99], v[98:99], v[136:137]
	v_add_f64_e32 v[168:169], v[168:169], v[134:135]
	v_add_f64_e64 v[136:137], v[136:137], -v[142:143]
	v_add_f64_e32 v[66:67], v[66:67], v[70:71]
	v_add_f64_e32 v[70:71], v[2:3], v[146:147]
	v_add_f64_e64 v[134:135], v[134:135], -v[140:141]
	v_add_f64_e32 v[174:175], v[174:175], v[46:47]
	v_add_f64_e32 v[176:177], v[176:177], v[132:133]
	v_add_f64_e64 v[132:133], v[132:133], -v[126:127]
	v_add_f64_e32 v[201:202], v[201:202], v[203:204]
	v_add_f64_e64 v[203:204], v[28:29], -v[24:25]
	v_add_f64_e32 v[178:179], v[178:179], v[130:131]
	v_add_f64_e32 v[160:161], v[160:161], v[240:241]
	;; [unrolled: 1-line block ×3, first 2 shown]
	v_add_f64_e64 v[122:123], v[122:123], -v[110:111]
	v_add_f64_e32 v[88:89], v[88:89], v[92:93]
	v_add_f64_e64 v[92:93], v[42:43], -v[138:139]
	v_add_f64_e64 v[46:47], v[46:47], -v[54:55]
	v_add_f64_e32 v[182:183], v[182:183], v[42:43]
	v_add_f64_e32 v[96:97], v[96:97], v[162:163]
	v_add_f64_e64 v[162:163], v[24:25], -v[28:29]
	v_add_f64_e64 v[130:131], v[130:131], -v[128:129]
	;; [unrolled: 1-line block ×3, first 2 shown]
	v_add_f64_e32 v[104:105], v[104:105], v[166:167]
	v_add_f64_e32 v[166:167], v[106:107], v[102:103]
	v_add_f64_e64 v[42:43], v[42:43], -v[24:25]
	v_add_f64_e64 v[112:113], v[112:113], -v[120:121]
	v_add_f64_e32 v[180:181], v[180:181], v[210:211]
	v_add_f64_e32 v[210:211], v[146:147], v[34:35]
	v_add_f64_e64 v[146:147], v[146:147], -v[34:35]
	v_add_f64_e64 v[138:139], v[138:139], -v[28:29]
	;; [unrolled: 4-line block ×3, first 2 shown]
	v_add_f64_e32 v[232:233], v[232:233], v[236:237]
	v_add_f64_e32 v[236:237], v[16:17], v[8:9]
	v_add_f64_e64 v[16:17], v[16:17], -v[8:9]
	v_add_f64_e32 v[98:99], v[98:99], v[142:143]
	v_add_f64_e32 v[142:143], v[40:41], v[36:37]
	;; [unrolled: 1-line block ×5, first 2 shown]
	v_add_f64_e64 v[106:107], v[106:107], -v[102:103]
	v_add_f64_e32 v[54:55], v[174:175], v[54:55]
	v_add_f64_e32 v[126:127], v[176:177], v[126:127]
	v_fma_f64 v[174:175], v[132:133], s[0:1], v[4:5]
	v_fma_f64 v[4:5], v[132:133], s[18:19], v[4:5]
	v_add_f64_e32 v[203:204], v[238:239], v[203:204]
	v_add_f64_e32 v[238:239], v[22:23], v[14:15]
	;; [unrolled: 1-line block ×4, first 2 shown]
	v_add_f64_e64 v[20:21], v[20:21], -v[12:13]
	v_fma_f64 v[178:179], v[122:123], s[18:19], v[62:63]
	v_fma_f64 v[62:63], v[122:123], s[0:1], v[62:63]
	v_add3_u32 v200, 0, v207, v200
	v_add_f64_e32 v[24:25], v[182:183], v[24:25]
	global_wb scope:SCOPE_SE
	v_add_f64_e32 v[92:93], v[92:93], v[162:163]
	v_add_f64_e32 v[162:163], v[18:19], v[10:11]
	s_barrier_signal -1
	s_barrier_wait -1
	v_fma_f64 v[166:167], v[166:167], -0.5, v[2:3]
	global_inv scope:SCOPE_SE
	v_fma_f64 v[2:3], v[210:211], -0.5, v[2:3]
	v_add_f64_e32 v[210:211], v[58:59], v[38:39]
	v_fma_f64 v[230:231], v[230:231], -0.5, v[154:155]
	v_fma_f64 v[154:155], v[236:237], -0.5, v[154:155]
	v_add_f64_e32 v[236:237], v[148:149], v[26:27]
	v_add_f64_e32 v[98:99], v[98:99], v[120:121]
	v_fma_f64 v[142:143], v[142:143], -0.5, v[144:145]
	v_add_f64_e32 v[116:117], v[140:141], v[116:117]
	v_fma_f64 v[168:169], v[168:169], -0.5, v[152:153]
	v_add_f64_e32 v[70:71], v[70:71], v[102:103]
	v_add_f64_e32 v[102:103], v[56:57], v[48:49]
	v_fma_f64 v[140:141], v[42:43], s[0:1], v[0:1]
	v_fma_f64 v[0:1], v[42:43], s[18:19], v[0:1]
	;; [unrolled: 1-line block ×4, first 2 shown]
	v_add_f64_e32 v[30:31], v[54:55], v[30:31]
	v_fma_f64 v[238:239], v[238:239], -0.5, v[150:151]
	v_add_f64_e32 v[108:109], v[128:129], v[108:109]
	v_add_f64_e32 v[12:13], v[240:241], v[12:13]
	;; [unrolled: 1-line block ×3, first 2 shown]
	v_fma_f64 v[178:179], v[132:133], s[20:21], v[178:179]
	v_fma_f64 v[62:63], v[132:133], s[12:13], v[62:63]
	v_add_f64_e32 v[24:25], v[24:25], v[28:29]
	v_fma_f64 v[162:163], v[162:163], -0.5, v[150:151]
	v_add_f64_e32 v[150:151], v[150:151], v[18:19]
	v_add_f64_e64 v[18:19], v[18:19], -v[10:11]
	v_fma_f64 v[210:211], v[210:211], -0.5, v[60:61]
	v_fma_f64 v[236:237], v[236:237], -0.5, v[60:61]
	v_add_f64_e32 v[60:61], v[60:61], v[148:149]
	v_add_f64_e64 v[148:149], v[148:149], -v[26:27]
	v_fma_f64 v[122:123], v[16:17], s[0:1], v[142:143]
	v_fma_f64 v[142:143], v[16:17], s[18:19], v[142:143]
	v_add_f64_e32 v[34:35], v[70:71], v[34:35]
	v_fma_f64 v[102:103], v[102:103], -0.5, v[144:145]
	v_add_f64_e32 v[144:145], v[144:145], v[56:57]
	v_add_f64_e64 v[56:57], v[56:57], -v[48:49]
	v_fma_f64 v[0:1], v[138:139], s[12:13], v[0:1]
	v_fma_f64 v[4:5], v[156:157], s[14:15], v[4:5]
	v_add_f64_e32 v[8:9], v[12:13], v[8:9]
	v_fma_f64 v[240:241], v[240:241], -0.5, v[152:153]
	v_add_f64_e32 v[152:153], v[152:153], v[44:45]
	v_add_f64_e64 v[44:45], v[44:45], -v[50:51]
	v_fma_f64 v[12:13], v[138:139], s[18:19], v[72:73]
	v_fma_f64 v[72:73], v[138:139], s[0:1], v[72:73]
	;; [unrolled: 1-line block ×3, first 2 shown]
	v_add_f64_e32 v[150:151], v[150:151], v[22:23]
	v_add_f64_e64 v[22:23], v[22:23], -v[14:15]
	v_add_f64_e32 v[60:61], v[60:61], v[58:59]
	v_add_f64_e64 v[58:59], v[58:59], -v[38:39]
	v_fma_f64 v[176:177], v[148:149], s[18:19], v[166:167]
	v_fma_f64 v[166:167], v[148:149], s[0:1], v[166:167]
	;; [unrolled: 1-line block ×4, first 2 shown]
	v_add_f64_e32 v[144:145], v[144:145], v[40:41]
	v_add_f64_e64 v[40:41], v[40:41], -v[36:37]
	v_fma_f64 v[120:121], v[56:57], s[0:1], v[230:231]
	v_fma_f64 v[102:103], v[20:21], s[0:1], v[102:103]
	;; [unrolled: 1-line block ×7, first 2 shown]
	v_add_f64_e32 v[152:153], v[152:153], v[32:33]
	v_add_f64_e64 v[32:33], v[32:33], -v[52:53]
	v_fma_f64 v[132:133], v[44:45], s[0:1], v[238:239]
	v_fma_f64 v[238:239], v[44:45], s[18:19], v[238:239]
	;; [unrolled: 1-line block ×4, first 2 shown]
	v_add_f64_e32 v[14:15], v[150:151], v[14:15]
	v_fma_f64 v[198:199], v[22:23], s[18:19], v[240:241]
	v_add_f64_e32 v[38:39], v[60:61], v[38:39]
	v_fma_f64 v[150:151], v[58:59], s[0:1], v[2:3]
	v_fma_f64 v[2:3], v[58:59], s[18:19], v[2:3]
	;; [unrolled: 1-line block ×5, first 2 shown]
	v_add_f64_e32 v[36:37], v[144:145], v[36:37]
	v_fma_f64 v[144:145], v[146:147], s[0:1], v[210:211]
	v_fma_f64 v[210:211], v[146:147], s[18:19], v[210:211]
	;; [unrolled: 1-line block ×8, first 2 shown]
	v_add_f64_e32 v[52:53], v[152:153], v[52:53]
	v_fma_f64 v[152:153], v[130:131], s[0:1], v[6:7]
	v_fma_f64 v[6:7], v[130:131], s[18:19], v[6:7]
	;; [unrolled: 1-line block ×12, first 2 shown]
	v_add_f64_e32 v[10:11], v[14:15], v[10:11]
	v_fma_f64 v[14:15], v[138:139], s[20:21], v[140:141]
	v_fma_f64 v[68:69], v[124:125], s[20:21], v[68:69]
	;; [unrolled: 1-line block ×5, first 2 shown]
	v_add_f64_e32 v[26:27], v[38:39], v[26:27]
	v_fma_f64 v[150:151], v[148:149], s[20:21], v[150:151]
	v_fma_f64 v[2:3], v[148:149], s[12:13], v[2:3]
	;; [unrolled: 1-line block ×23, first 2 shown]
	v_add_f64_e32 v[38:39], v[126:127], v[110:111]
	v_fma_f64 v[58:59], v[90:91], s[14:15], v[58:59]
	v_fma_f64 v[22:23], v[22:23], s[20:21], v[168:169]
	;; [unrolled: 1-line block ×3, first 2 shown]
	v_add_f64_e32 v[36:37], v[36:37], v[48:49]
	v_fma_f64 v[28:29], v[90:91], s[14:15], v[176:177]
	v_fma_f64 v[102:103], v[134:135], s[12:13], v[102:103]
	;; [unrolled: 1-line block ×6, first 2 shown]
	v_add_f64_e32 v[50:51], v[52:53], v[50:51]
	v_fma_f64 v[16:17], v[234:235], s[14:15], v[16:17]
	v_fma_f64 v[14:15], v[160:161], s[14:15], v[14:15]
	;; [unrolled: 1-line block ×25, first 2 shown]
	v_mul_f64_e32 v[136:137], s[20:21], v[72:73]
	v_mul_f64_e32 v[138:139], s[18:19], v[70:71]
	v_fma_f64 v[32:33], v[74:75], s[14:15], v[32:33]
	v_mul_f64_e32 v[128:129], s[16:17], v[58:59]
	v_fma_f64 v[22:23], v[201:202], s[14:15], v[22:23]
	;; [unrolled: 2-line block ×3, first 2 shown]
	v_fma_f64 v[152:153], v[228:229], s[14:15], v[152:153]
	v_fma_f64 v[6:7], v[228:229], s[14:15], v[6:7]
	;; [unrolled: 1-line block ×4, first 2 shown]
	v_mul_f64_e32 v[162:163], s[12:13], v[40:41]
	v_fma_f64 v[84:85], v[232:233], s[14:15], v[84:85]
	v_mul_f64_e32 v[154:155], s[0:1], v[48:49]
	v_fma_f64 v[122:123], v[88:89], s[14:15], v[148:149]
	v_mul_f64_e32 v[106:107], s[18:19], v[60:61]
	v_add_f64_e32 v[148:149], v[98:99], v[34:35]
	v_fma_f64 v[18:19], v[96:97], s[14:15], v[18:19]
	v_mul_f64_e32 v[100:101], s[20:21], v[54:55]
	v_add_f64_e64 v[34:35], v[98:99], -v[34:35]
	v_add_f64_e32 v[98:99], v[116:117], v[8:9]
	v_add_f64_e64 v[8:9], v[116:117], -v[8:9]
	v_fma_f64 v[114:115], v[46:47], s[12:13], v[130:131]
	v_fma_f64 v[130:131], v[124:125], s[12:13], v[142:143]
	v_mul_f64_e32 v[124:125], s[14:15], v[2:3]
	v_mul_f64_e32 v[140:141], s[14:15], v[56:57]
	;; [unrolled: 1-line block ×3, first 2 shown]
	v_fma_f64 v[44:45], v[88:89], s[14:15], v[44:45]
	v_fma_f64 v[46:47], v[46:47], s[20:21], v[158:159]
	v_mul_f64_e32 v[116:117], s[12:13], v[28:29]
	v_mul_f64_e32 v[158:159], s[16:17], v[94:95]
	;; [unrolled: 1-line block ×5, first 2 shown]
	v_fma_f64 v[86:87], v[170:171], s[14:15], v[210:211]
	v_fma_f64 v[64:65], v[170:171], s[14:15], v[64:65]
	;; [unrolled: 1-line block ×4, first 2 shown]
	v_mul_f64_e32 v[52:53], s[0:1], v[52:53]
	v_fma_f64 v[94:95], v[94:95], s[20:21], -v[128:129]
	v_fma_f64 v[110:111], v[180:181], s[14:15], v[110:111]
	v_fma_f64 v[76:77], v[104:105], s[14:15], v[76:77]
	v_fma_f64 v[80:81], v[180:181], s[14:15], v[80:81]
	v_add_f64_e32 v[128:129], v[38:39], v[26:27]
	v_mov_b32_e32 v211, 0
	v_fma_f64 v[72:73], v[72:73], s[16:17], v[162:163]
	v_fma_f64 v[60:61], v[60:61], s[14:15], v[154:155]
	v_mul_f64_e32 v[96:97], s[14:15], v[122:123]
	v_fma_f64 v[48:49], v[48:49], s[14:15], v[106:107]
	v_fma_f64 v[28:29], v[28:29], s[16:17], v[100:101]
	v_add_f64_e32 v[100:101], v[30:31], v[10:11]
	v_add_f64_e64 v[10:11], v[30:31], -v[10:11]
	v_fma_f64 v[30:31], v[104:105], s[14:15], v[132:133]
	v_fma_f64 v[132:133], v[22:23], s[20:21], -v[144:145]
	v_mul_f64_e32 v[22:23], s[16:17], v[22:23]
	v_fma_f64 v[90:91], v[90:91], s[18:19], -v[124:125]
	v_fma_f64 v[106:107], v[16:17], s[18:19], -v[140:141]
	;; [unrolled: 1-line block ×3, first 2 shown]
	v_mul_f64_e32 v[16:17], s[14:15], v[16:17]
	v_mul_f64_e32 v[20:21], s[16:17], v[20:21]
	v_fma_f64 v[54:55], v[54:55], s[16:17], v[116:117]
	v_fma_f64 v[58:59], v[58:59], s[12:13], -v[158:159]
	v_fma_f64 v[74:75], v[32:33], s[16:17], v[74:75]
	v_fma_f64 v[88:89], v[44:45], s[14:15], v[88:89]
	v_mul_f64_e32 v[32:33], s[12:13], v[32:33]
	v_mul_f64_e32 v[44:45], s[0:1], v[44:45]
	v_fma_f64 v[2:3], v[2:3], s[0:1], -v[156:157]
	v_fma_f64 v[104:105], v[232:233], s[14:15], v[134:135]
	v_add_f64_e32 v[138:139], v[62:63], v[94:95]
	v_add_f64_e64 v[62:63], v[62:63], -v[94:95]
	v_add_f64_e32 v[94:95], v[152:153], v[66:67]
	v_add_f64_e64 v[66:67], v[152:153], -v[66:67]
	v_fma_f64 v[96:97], v[18:19], s[18:19], -v[96:97]
	v_mul_f64_e32 v[18:19], s[14:15], v[18:19]
	v_add_f64_e32 v[134:135], v[150:151], v[48:49]
	v_add_f64_e64 v[48:49], v[150:151], -v[48:49]
	v_add_f64_e32 v[116:117], v[146:147], v[28:29]
	v_add_f64_e64 v[28:29], v[146:147], -v[28:29]
	v_add_f64_e32 v[144:145], v[42:43], v[132:133]
	v_fma_f64 v[22:23], v[126:127], s[12:13], -v[22:23]
	v_add_f64_e32 v[136:137], v[4:5], v[90:91]
	v_add_f64_e64 v[4:5], v[4:5], -v[90:91]
	v_add_f64_e32 v[90:91], v[86:87], v[40:41]
	v_add_f64_e32 v[142:143], v[64:65], v[124:125]
	v_add_f64_e64 v[40:41], v[86:87], -v[40:41]
	v_add_f64_e64 v[64:65], v[64:65], -v[124:125]
	v_fma_f64 v[20:21], v[120:121], s[12:13], -v[20:21]
	v_add_f64_e32 v[86:87], v[12:13], v[74:75]
	v_add_f64_e64 v[12:13], v[12:13], -v[74:75]
	v_fma_f64 v[74:75], v[203:204], s[14:15], v[114:115]
	v_add_f64_e32 v[114:115], v[108:109], v[36:37]
	v_add_f64_e64 v[108:109], v[108:109], -v[36:37]
	v_fma_f64 v[36:37], v[56:57], s[0:1], -v[16:17]
	v_add_f64_e32 v[140:141], v[6:7], v[106:107]
	v_fma_f64 v[32:33], v[112:113], s[16:17], v[32:33]
	v_add_f64_e64 v[6:7], v[6:7], -v[106:107]
	v_add_f64_e32 v[106:107], v[14:15], v[88:89]
	v_add_f64_e64 v[14:15], v[14:15], -v[88:89]
	v_fma_f64 v[88:89], v[203:204], s[14:15], v[46:47]
	v_add_f64_e64 v[42:43], v[42:43], -v[132:133]
	v_add_f64_e32 v[112:113], v[30:31], v[54:55]
	v_add_f64_e32 v[120:121], v[80:81], v[2:3]
	v_add_f64_e64 v[80:81], v[80:81], -v[2:3]
	v_add_f64_e32 v[126:127], v[102:103], v[72:73]
	v_add_f64_e32 v[124:125], v[0:1], v[96:97]
	v_add_f64_e64 v[0:1], v[0:1], -v[96:97]
	v_fma_f64 v[96:97], v[92:93], s[14:15], v[130:131]
	v_add_f64_e64 v[92:93], v[38:39], -v[26:27]
	v_fma_f64 v[26:27], v[70:71], s[14:15], v[52:53]
	v_fma_f64 v[38:39], v[118:119], s[14:15], v[44:45]
	v_fma_f64 v[70:71], v[122:123], s[0:1], -v[18:19]
	v_add_f64_e32 v[118:119], v[110:111], v[60:61]
	v_add_f64_e64 v[122:123], v[30:31], -v[54:55]
	v_add_f64_e64 v[60:61], v[110:111], -v[60:61]
	v_add_f64_e32 v[110:111], v[76:77], v[58:59]
	v_add_f64_e64 v[76:77], v[76:77], -v[58:59]
	ds_store_2addr_b64 v79, v[148:149], v[116:117] offset1:9
	ds_store_2addr_b64 v79, v[134:135], v[136:137] offset0:18 offset1:27
	ds_store_2addr_b64 v79, v[138:139], v[34:35] offset0:36 offset1:45
	ds_store_2addr_b64 v79, v[28:29], v[48:49] offset0:54 offset1:63
	ds_store_2addr_b64 v79, v[4:5], v[62:63] offset0:72 offset1:81
	ds_store_2addr_b64 v78, v[98:99], v[90:91] offset1:9
	ds_store_2addr_b64 v78, v[94:95], v[140:141] offset0:18 offset1:27
	ds_store_2addr_b64 v78, v[142:143], v[8:9] offset0:36 offset1:45
	ds_store_2addr_b64 v78, v[40:41], v[66:67] offset0:54 offset1:63
	ds_store_2addr_b64 v78, v[6:7], v[64:65] offset0:72 offset1:81
	;; [unrolled: 5-line block ×3, first 2 shown]
	v_add_f64_e64 v[62:63], v[102:103], -v[72:73]
	v_add_f64_e32 v[66:67], v[84:85], v[36:37]
	v_add_f64_e32 v[72:73], v[82:83], v[20:21]
	v_add_f64_e64 v[84:85], v[84:85], -v[36:37]
	v_add_f64_e64 v[82:83], v[82:83], -v[20:21]
	v_add_f64_e32 v[90:91], v[24:25], v[50:51]
	v_add_f64_e32 v[98:99], v[74:75], v[32:33]
	v_add_f64_e64 v[74:75], v[74:75], -v[32:33]
	v_add_f64_e64 v[94:95], v[24:25], -v[50:51]
	v_cmp_gt_u32_e64 s0, 0x5a, v216
	global_wb scope:SCOPE_SE
	s_wait_dscnt 0x0
	s_barrier_signal -1
	s_barrier_wait -1
	global_inv scope:SCOPE_SE
	v_add_f64_e32 v[64:65], v[104:105], v[26:27]
	v_add_f64_e64 v[86:87], v[104:105], -v[26:27]
	v_add_f64_e32 v[100:101], v[96:97], v[38:39]
	v_add_f64_e64 v[96:97], v[96:97], -v[38:39]
	;; [unrolled: 2-line block ×3, first 2 shown]
	v_add_f64_e64 v[70:71], v[88:89], -v[22:23]
	v_add_f64_e32 v[104:105], v[88:89], v[22:23]
	v_mul_lo_u16 v88, 0xb7, v197
	v_add_nc_u32_e32 v89, 0xffffffa6, v216
	ds_load_2addr_b64 v[4:7], v214 offset1:108
	ds_load_2addr_b64 v[0:3], v188 offset0:48 offset1:156
	ds_load_2addr_b64 v[56:59], v215 offset0:56 offset1:164
	;; [unrolled: 1-line block ×14, first 2 shown]
	global_wb scope:SCOPE_SE
	s_wait_dscnt 0x0
	v_lshrrev_b16 v176, 14, v88
	s_barrier_signal -1
	s_barrier_wait -1
	global_inv scope:SCOPE_SE
	ds_store_2addr_b64 v79, v[128:129], v[112:113] offset1:9
	ds_store_2addr_b64 v79, v[118:119], v[120:121] offset0:18 offset1:27
	ds_store_2addr_b64 v79, v[110:111], v[92:93] offset0:36 offset1:45
	;; [unrolled: 1-line block ×4, first 2 shown]
	s_wait_alu 0xf1ff
	v_cndmask_b32_e64 v177, v89, v216, s0
	v_mul_lo_u16 v60, 0x5a, v176
	ds_store_2addr_b64 v78, v[114:115], v[126:127] offset1:9
	v_mul_u32_u24_e32 v77, 0x2d83, v186
	v_mul_i32_i24_e32 v210, 5, v177
	v_sub_nc_u16 v60, v195, v60
	s_delay_alu instid0(VALU_DEP_3) | instskip(NEXT) | instid1(VALU_DEP_2)
	v_lshrrev_b32_e32 v180, 20, v77
	v_and_b32_e32 v174, 0xff, v60
	s_delay_alu instid0(VALU_DEP_4) | instskip(NEXT) | instid1(VALU_DEP_3)
	v_lshlrev_b64_e32 v[60:61], 4, v[210:211]
	v_mul_lo_u16 v77, 0x5a, v180
	s_delay_alu instid0(VALU_DEP_2)
	v_add_co_u32 v92, s0, s8, v60
	ds_store_2addr_b64 v78, v[64:65], v[66:67] offset0:18 offset1:27
	ds_store_2addr_b64 v78, v[72:73], v[108:109] offset0:36 offset1:45
	;; [unrolled: 1-line block ×4, first 2 shown]
	v_mul_u32_u24_e32 v62, 5, v174
	s_wait_alu 0xf1ff
	v_add_co_ci_u32_e64 v93, s0, s9, v61, s0
	ds_store_2addr_b64 v200, v[90:91], v[98:99] offset1:9
	ds_store_2addr_b64 v200, v[100:101], v[102:103] offset0:18 offset1:27
	ds_store_2addr_b64 v200, v[104:105], v[94:95] offset0:36 offset1:45
	;; [unrolled: 1-line block ×4, first 2 shown]
	v_lshlrev_b32_e32 v76, 4, v62
	global_wb scope:SCOPE_SE
	s_wait_dscnt 0x0
	s_barrier_signal -1
	s_barrier_wait -1
	global_inv scope:SCOPE_SE
	s_clause 0x1
	global_load_b128 v[116:119], v[92:93], off offset:1408
	global_load_b128 v[72:75], v[92:93], off offset:1440
	v_mul_u32_u24_e32 v60, 0x2d83, v196
	s_clause 0x1
	global_load_b128 v[108:111], v76, s[8:9] offset:1408
	global_load_b128 v[64:67], v76, s[8:9] offset:1440
	v_sub_nc_u16 v77, v185, v77
	v_mul_u32_u24_e32 v95, 0x2d83, v184
	v_lshrrev_b32_e32 v178, 20, v60
	v_cmp_lt_u32_e64 s0, 0x59, v216
	v_lshlrev_b32_e32 v174, 3, v174
	v_and_b32_e32 v179, 0xffff, v77
	v_lshrrev_b32_e32 v181, 20, v95
	v_mul_lo_u16 v60, 0x5a, v178
	v_mul_u32_u24_e32 v178, 0x10e0, v178
	s_delay_alu instid0(VALU_DEP_4) | instskip(NEXT) | instid1(VALU_DEP_4)
	v_mul_u32_u24_e32 v94, 5, v179
	v_mul_u32_u24_e32 v207, 0x10e0, v181
	s_delay_alu instid0(VALU_DEP_4)
	v_sub_nc_u16 v60, v187, v60
	s_wait_alu 0xf1ff
	v_cndmask_b32_e64 v187, 0, 0x10e0, s0
	v_lshlrev_b32_e32 v210, 3, v179
	v_lshlrev_b32_e32 v124, 4, v94
	v_mul_lo_u16 v94, 0x5a, v181
	v_and_b32_e32 v175, 0xffff, v60
	s_delay_alu instid0(VALU_DEP_2) | instskip(NEXT) | instid1(VALU_DEP_2)
	v_sub_nc_u16 v94, v194, v94
	v_mul_u32_u24_e32 v60, 5, v175
	v_lshlrev_b32_e32 v175, 3, v175
	s_delay_alu instid0(VALU_DEP_3) | instskip(NEXT) | instid1(VALU_DEP_3)
	v_and_b32_e32 v182, 0xffff, v94
	v_lshlrev_b32_e32 v104, 4, v60
	s_clause 0x9
	global_load_b128 v[60:63], v76, s[8:9] offset:1392
	global_load_b128 v[68:71], v104, s[8:9] offset:1392
	;; [unrolled: 1-line block ×8, first 2 shown]
	global_load_b128 v[152:155], v[92:93], off offset:1424
	global_load_b128 v[156:159], v[92:93], off offset:1456
	v_mul_u32_u24_e32 v105, 5, v182
	s_clause 0x1
	global_load_b128 v[92:95], v[92:93], off offset:1392
	global_load_b128 v[148:151], v124, s[8:9] offset:1424
	v_lshlrev_b32_e32 v182, 3, v182
	v_lshlrev_b32_e32 v125, 4, v105
	s_clause 0x8
	global_load_b128 v[104:107], v104, s[8:9] offset:1440
	global_load_b128 v[120:123], v125, s[8:9] offset:1424
	;; [unrolled: 1-line block ×9, first 2 shown]
	ds_load_2addr_b64 v[183:186], v215 offset0:56 offset1:164
	ds_load_2addr_b64 v[168:171], v217 offset0:112 offset1:220
	;; [unrolled: 1-line block ×5, first 2 shown]
	v_add3_u32 v182, 0, v207, v182
	s_wait_loadcnt_dscnt 0x1804
	v_mul_f64_e32 v[199:200], v[183:184], v[118:119]
	v_mul_f64_e32 v[118:119], v[56:57], v[118:119]
	s_wait_loadcnt_dscnt 0x1703
	v_mul_f64_e32 v[203:204], v[168:169], v[74:75]
	s_wait_loadcnt 0x16
	v_mul_f64_e32 v[201:202], v[185:186], v[110:111]
	v_mul_f64_e32 v[110:111], v[58:59], v[110:111]
	;; [unrolled: 1-line block ×3, first 2 shown]
	s_wait_loadcnt 0x15
	v_mul_f64_e32 v[74:75], v[170:171], v[66:67]
	v_mul_f64_e32 v[66:67], v[54:55], v[66:67]
	s_wait_loadcnt_dscnt 0x1402
	v_mul_f64_e32 v[212:213], v[164:165], v[62:63]
	v_mul_f64_e32 v[224:225], v[44:45], v[62:63]
	s_wait_loadcnt 0x13
	v_mul_f64_e32 v[226:227], v[166:167], v[70:71]
	s_wait_loadcnt_dscnt 0x1201
	v_mul_f64_e32 v[230:231], v[160:161], v[90:91]
	v_fma_f64 v[199:200], v[56:57], v[116:117], -v[199:200]
	v_fma_f64 v[116:117], v[183:184], v[116:117], v[118:119]
	s_wait_loadcnt 0x10
	v_mul_f64_e32 v[118:119], v[162:163], v[86:87]
	v_fma_f64 v[183:184], v[58:59], v[108:109], -v[201:202]
	ds_load_2addr_b64 v[56:59], v219 offset0:16 offset1:124
	v_mul_f64_e32 v[228:229], v[46:47], v[70:71]
	v_mul_f64_e32 v[90:91], v[48:49], v[90:91]
	v_lshlrev_b32_e32 v62, 3, v177
	v_mul_f64_e32 v[86:87], v[50:51], v[86:87]
	v_and_b32_e32 v71, 0xffff, v176
	s_wait_dscnt 0x1
	v_mul_f64_e32 v[176:177], v[195:196], v[82:83]
	v_mul_f64_e32 v[201:202], v[40:41], v[82:83]
	v_add3_u32 v62, 0, v187, v62
	v_mul_u32_u24_e32 v187, 0x10e0, v180
	s_wait_loadcnt 0xe
	v_mul_f64_e32 v[180:181], v[197:198], v[78:79]
	v_mul_f64_e32 v[78:79], v[42:43], v[78:79]
	v_fma_f64 v[185:186], v[185:186], v[108:109], v[110:111]
	v_fma_f64 v[203:204], v[52:53], v[72:73], -v[203:204]
	v_fma_f64 v[168:169], v[168:169], v[72:73], v[205:206]
	ds_load_2addr_b64 v[108:111], v192 offset0:104 offset1:212
	v_fma_f64 v[205:206], v[54:55], v[64:65], -v[74:75]
	ds_load_2addr_b64 v[52:55], v193 offset0:32 offset1:140
	v_mul_u32_u24_e32 v75, 0x10e0, v71
	v_fma_f64 v[170:171], v[170:171], v[64:65], v[66:67]
	s_wait_dscnt 0x2
	v_mul_f64_e32 v[232:233], v[56:57], v[102:103]
	v_mul_f64_e32 v[102:103], v[36:37], v[102:103]
	ds_load_2addr_b64 v[64:67], v188 offset0:48 offset1:156
	ds_load_2addr_b64 v[71:74], v220 offset0:72 offset1:180
	v_add3_u32 v187, 0, v187, v210
	v_add_nc_u32_e32 v63, 0x400, v62
	v_add_nc_u32_e32 v70, 0x800, v62
	v_fma_f64 v[212:213], v[44:45], v[60:61], -v[212:213]
	v_fma_f64 v[60:61], v[164:165], v[60:61], v[224:225]
	v_fma_f64 v[224:225], v[46:47], v[68:69], -v[226:227]
	ds_load_2addr_b64 v[44:47], v191 offset0:24 offset1:132
	v_fma_f64 v[226:227], v[48:49], v[88:89], -v[230:231]
	s_wait_loadcnt 0xd
	v_mul_f64_e32 v[164:165], v[58:59], v[98:99]
	v_fma_f64 v[118:119], v[50:51], v[84:85], -v[118:119]
	ds_load_2addr_b64 v[48:51], v190 offset0:80 offset1:188
	v_mul_f64_e32 v[98:99], v[38:39], v[98:99]
	v_fma_f64 v[68:69], v[166:167], v[68:69], v[228:229]
	s_wait_loadcnt_dscnt 0xc05
	v_mul_f64_e32 v[166:167], v[110:111], v[154:155]
	v_fma_f64 v[88:89], v[160:161], v[88:89], v[90:91]
	v_mul_f64_e32 v[90:91], v[18:19], v[154:155]
	s_wait_loadcnt_dscnt 0xb04
	v_mul_f64_e32 v[154:155], v[54:55], v[158:159]
	v_mul_f64_e32 v[158:159], v[14:15], v[158:159]
	v_fma_f64 v[86:87], v[162:163], v[84:85], v[86:87]
	v_fma_f64 v[162:163], v[40:41], v[80:81], -v[176:177]
	v_fma_f64 v[80:81], v[195:196], v[80:81], v[201:202]
	v_add3_u32 v201, 0, v75, v174
	v_fma_f64 v[176:177], v[42:43], v[76:77], -v[180:181]
	v_fma_f64 v[75:76], v[197:198], v[76:77], v[78:79]
	s_wait_loadcnt 0x7
	v_mul_f64_e32 v[42:43], v[30:31], v[122:123]
	s_wait_loadcnt 0x4
	v_mul_f64_e32 v[180:181], v[34:35], v[146:147]
	s_wait_dscnt 0x1
	v_mul_f64_e32 v[40:41], v[44:45], v[150:151]
	v_mul_f64_e32 v[150:151], v[28:29], v[150:151]
	ds_load_2addr_b64 v[82:85], v189 offset0:96 offset1:204
	v_mul_f64_e32 v[160:161], v[66:67], v[94:95]
	s_wait_dscnt 0x1
	v_mul_f64_e32 v[77:78], v[48:49], v[142:143]
	v_mul_f64_e32 v[142:143], v[32:33], v[142:143]
	v_fma_f64 v[56:57], v[56:57], v[100:101], v[102:103]
	v_mul_f64_e32 v[102:103], v[46:47], v[122:123]
	v_mul_f64_e32 v[122:123], v[50:51], v[146:147]
	;; [unrolled: 1-line block ×3, first 2 shown]
	v_add3_u32 v202, 0, v178, v175
	v_mul_f64_e32 v[174:175], v[71:72], v[106:107]
	v_mul_f64_e32 v[106:107], v[24:25], v[106:107]
	;; [unrolled: 1-line block ×3, first 2 shown]
	v_fma_f64 v[195:196], v[36:37], v[100:101], -v[232:233]
	v_mul_f64_e32 v[100:101], v[26:27], v[114:115]
	v_add_nc_u32_e32 v197, 0x400, v201
	v_add_nc_u32_e32 v198, 0x800, v201
	;; [unrolled: 1-line block ×4, first 2 shown]
	v_fma_f64 v[114:115], v[38:39], v[96:97], -v[164:165]
	ds_load_2addr_b64 v[36:39], v214 offset1:108
	s_wait_loadcnt_dscnt 0x301
	v_mul_f64_e32 v[146:147], v[82:83], v[138:139]
	v_fma_f64 v[58:59], v[58:59], v[96:97], v[98:99]
	s_wait_loadcnt 0x2
	v_mul_f64_e32 v[98:99], v[84:85], v[134:135]
	v_fma_f64 v[18:19], v[18:19], v[152:153], -v[166:167]
	v_mul_f64_e32 v[96:97], v[20:21], v[138:139]
	v_fma_f64 v[90:91], v[110:111], v[152:153], v[90:91]
	v_fma_f64 v[14:15], v[14:15], v[156:157], -v[154:155]
	v_fma_f64 v[54:55], v[54:55], v[156:157], v[158:159]
	s_wait_loadcnt 0x1
	v_mul_f64_e32 v[138:139], v[108:109], v[130:131]
	v_mul_f64_e32 v[134:135], v[22:23], v[134:135]
	v_mul_f64_e32 v[130:131], v[16:17], v[130:131]
	s_wait_loadcnt 0x0
	v_mul_f64_e32 v[110:111], v[52:53], v[126:127]
	v_mul_f64_e32 v[126:127], v[12:13], v[126:127]
	v_add_f64_e64 v[154:155], v[199:200], -v[203:204]
	v_fma_f64 v[46:47], v[46:47], v[120:121], v[42:43]
	v_fma_f64 v[50:51], v[50:51], v[144:145], v[180:181]
	v_fma_f64 v[28:29], v[28:29], v[148:149], -v[40:41]
	v_fma_f64 v[44:45], v[44:45], v[148:149], v[150:151]
	ds_load_2addr_b64 v[40:43], v218 offset0:88 offset1:196
	v_fma_f64 v[2:3], v[2:3], v[92:93], -v[160:161]
	v_fma_f64 v[32:33], v[32:33], v[140:141], -v[77:78]
	v_fma_f64 v[48:49], v[48:49], v[140:141], v[142:143]
	v_add_nc_u32_e32 v228, 0x400, v187
	v_fma_f64 v[30:31], v[30:31], v[120:121], -v[102:103]
	v_fma_f64 v[34:35], v[34:35], v[144:145], -v[122:123]
	v_fma_f64 v[66:67], v[66:67], v[92:93], v[94:95]
	v_add_f64_e32 v[120:121], v[86:87], v[75:76]
	v_fma_f64 v[24:25], v[24:25], v[104:105], -v[174:175]
	v_fma_f64 v[71:72], v[71:72], v[104:105], v[106:107]
	v_add_f64_e32 v[106:107], v[88:89], v[80:81]
	v_add_f64_e32 v[104:105], v[226:227], v[162:163]
	v_fma_f64 v[26:27], v[26:27], v[112:113], -v[178:179]
	v_fma_f64 v[73:74], v[73:74], v[112:113], v[100:101]
	v_add_f64_e32 v[122:123], v[6:7], v[183:184]
	v_add_f64_e32 v[94:95], v[183:184], v[205:206]
	;; [unrolled: 1-line block ×5, first 2 shown]
	v_fma_f64 v[20:21], v[20:21], v[136:137], -v[146:147]
	v_add_f64_e64 v[146:147], v[86:87], -v[75:76]
	v_fma_f64 v[22:23], v[22:23], v[132:133], -v[98:99]
	v_add_f64_e32 v[86:87], v[68:69], v[86:87]
	v_fma_f64 v[77:78], v[82:83], v[136:137], v[96:97]
	v_add_f64_e32 v[136:137], v[224:225], v[118:119]
	v_add_f64_e32 v[98:99], v[18:19], v[14:15]
	;; [unrolled: 1-line block ×3, first 2 shown]
	v_fma_f64 v[16:17], v[16:17], v[128:129], -v[138:139]
	v_fma_f64 v[82:83], v[84:85], v[132:133], v[134:135]
	v_fma_f64 v[84:85], v[108:109], v[128:129], v[130:131]
	v_add_f64_e32 v[108:109], v[118:119], v[176:177]
	v_fma_f64 v[52:53], v[52:53], v[124:125], v[126:127]
	v_fma_f64 v[12:13], v[12:13], v[124:125], -v[110:111]
	v_add_f64_e64 v[110:111], v[90:91], -v[54:55]
	v_add_f64_e32 v[138:139], v[46:47], v[50:51]
	v_add_f64_e32 v[124:125], v[212:213], v[226:227]
	v_add_f64_e64 v[128:129], v[226:227], -v[162:163]
	v_add_f64_e64 v[130:131], v[88:89], -v[80:81]
	v_add_f64_e32 v[96:97], v[2:3], v[18:19]
	v_add_f64_e32 v[126:127], v[28:29], v[32:33]
	v_add_f64_e32 v[132:133], v[44:45], v[48:49]
	v_add_f64_e64 v[18:19], v[18:19], -v[14:15]
	v_add_f64_e32 v[88:89], v[60:61], v[88:89]
	v_add_f64_e32 v[142:143], v[30:31], v[34:35]
	v_add_f64_e32 v[90:91], v[66:67], v[90:91]
	v_add_f64_e64 v[118:119], v[118:119], -v[176:177]
	v_fma_f64 v[68:69], v[120:121], -0.5, v[68:69]
	v_add_f64_e64 v[112:113], v[116:117], -v[168:169]
	v_fma_f64 v[60:61], v[106:107], -0.5, v[60:61]
	v_add_f64_e64 v[156:157], v[44:45], -v[48:49]
	v_add_f64_e32 v[148:149], v[114:115], v[26:27]
	s_wait_dscnt 0x1
	v_add_f64_e32 v[174:175], v[36:37], v[116:117]
	v_add_f64_e32 v[116:117], v[116:117], v[168:169]
	;; [unrolled: 1-line block ×3, first 2 shown]
	v_add_f64_e64 v[166:167], v[46:47], -v[50:51]
	v_add_f64_e64 v[180:181], v[56:57], -v[71:72]
	v_fma_f64 v[6:7], v[94:95], -0.5, v[6:7]
	v_add_f64_e32 v[152:153], v[20:21], v[28:29]
	v_add_f64_e64 v[28:29], v[28:29], -v[32:33]
	v_add_f64_e32 v[164:165], v[22:23], v[30:31]
	v_add_f64_e64 v[30:31], v[30:31], -v[34:35]
	v_add_f64_e32 v[44:45], v[77:78], v[44:45]
	v_fma_f64 v[4:5], v[92:93], -0.5, v[4:5]
	v_fma_f64 v[2:3], v[98:99], -0.5, v[2:3]
	;; [unrolled: 1-line block ×4, first 2 shown]
	v_add_f64_e32 v[98:99], v[56:57], v[71:72]
	v_add_f64_e32 v[46:47], v[82:83], v[46:47]
	v_fma_f64 v[108:109], v[108:109], -0.5, v[224:225]
	v_add_f64_e32 v[104:105], v[58:59], v[73:74]
	v_add_f64_e32 v[158:159], v[16:17], v[12:13]
	s_wait_dscnt 0x0
	v_add_f64_e32 v[56:57], v[40:41], v[56:57]
	v_fma_f64 v[82:83], v[138:139], -0.5, v[82:83]
	v_add_f64_e32 v[94:95], v[124:125], v[162:163]
	v_add_f64_e32 v[92:93], v[100:101], v[203:204]
	v_add_f64_e32 v[100:101], v[136:137], v[176:177]
	v_add_f64_e32 v[14:15], v[96:97], v[14:15]
	v_fma_f64 v[20:21], v[126:127], -0.5, v[20:21]
	v_fma_f64 v[77:78], v[132:133], -0.5, v[77:78]
	v_add_f64_e64 v[132:133], v[58:59], -v[73:74]
	v_add_f64_e32 v[58:59], v[42:43], v[58:59]
	v_fma_f64 v[22:23], v[142:143], -0.5, v[22:23]
	v_add_f64_e32 v[96:97], v[122:123], v[205:206]
	v_add_f64_e32 v[144:145], v[195:196], v[24:25]
	;; [unrolled: 1-line block ×3, first 2 shown]
	v_add_f64_e64 v[138:139], v[84:85], -v[52:53]
	v_fma_f64 v[136:137], v[128:129], s[4:5], v[60:61]
	v_add_f64_e32 v[84:85], v[64:65], v[84:85]
	v_add_f64_e64 v[142:143], v[195:196], -v[24:25]
	v_add_f64_e32 v[24:25], v[140:141], v[24:25]
	v_add_f64_e32 v[54:55], v[90:91], v[54:55]
	v_fma_f64 v[90:91], v[118:119], s[4:5], v[68:69]
	v_fma_f64 v[10:11], v[148:149], -0.5, v[10:11]
	v_fma_f64 v[36:37], v[116:117], -0.5, v[36:37]
	v_add_f64_e64 v[114:115], v[114:115], -v[26:27]
	v_add_f64_e32 v[26:27], v[150:151], v[26:27]
	v_add_f64_e32 v[160:161], v[0:1], v[16:17]
	v_add_f64_e64 v[134:135], v[185:186], -v[170:171]
	v_add_f64_e32 v[178:179], v[185:186], v[170:171]
	v_add_f64_e32 v[32:33], v[152:153], v[32:33]
	;; [unrolled: 1-line block ×3, first 2 shown]
	v_fma_f64 v[124:125], v[110:111], s[4:5], v[2:3]
	v_fma_f64 v[122:123], v[18:19], s[4:5], v[66:67]
	;; [unrolled: 1-line block ×3, first 2 shown]
	v_fma_f64 v[40:41], v[98:99], -0.5, v[40:41]
	v_fma_f64 v[2:3], v[110:111], s[2:3], v[2:3]
	v_fma_f64 v[148:149], v[146:147], s[4:5], v[108:109]
	v_fma_f64 v[42:43], v[104:105], -0.5, v[42:43]
	v_fma_f64 v[18:19], v[18:19], s[2:3], v[66:67]
	v_fma_f64 v[48:49], v[130:131], s[2:3], v[102:103]
	;; [unrolled: 1-line block ×4, first 2 shown]
	v_add_f64_e32 v[106:107], v[38:39], v[185:186]
	v_fma_f64 v[0:1], v[158:159], -0.5, v[0:1]
	v_add_f64_e32 v[46:47], v[46:47], v[50:51]
	v_fma_f64 v[150:151], v[156:157], s[4:5], v[20:21]
	v_fma_f64 v[116:117], v[28:29], s[4:5], v[77:78]
	;; [unrolled: 1-line block ×3, first 2 shown]
	v_add_f64_e32 v[58:59], v[58:59], v[73:74]
	v_fma_f64 v[104:105], v[166:167], s[4:5], v[22:23]
	v_fma_f64 v[68:69], v[118:119], s[2:3], v[68:69]
	;; [unrolled: 1-line block ×6, first 2 shown]
	v_add_f64_e32 v[56:57], v[56:57], v[71:72]
	v_add_f64_e32 v[71:72], v[86:87], v[75:76]
	;; [unrolled: 1-line block ×3, first 2 shown]
	v_mul_f64_e32 v[81:82], s[2:3], v[136:137]
	v_add_f64_e32 v[52:53], v[84:85], v[52:53]
	v_fma_f64 v[8:9], v[144:145], -0.5, v[8:9]
	v_mul_f64_e32 v[87:88], s[2:3], v[90:91]
	v_add_f64_e32 v[77:78], v[92:93], v[14:15]
	v_add_f64_e64 v[14:15], v[92:93], -v[14:15]
	v_fma_f64 v[66:67], v[112:113], s[2:3], v[4:5]
	v_fma_f64 v[4:5], v[112:113], s[4:5], v[4:5]
	v_add_f64_e64 v[16:17], v[16:17], -v[12:13]
	v_add_f64_e32 v[34:35], v[164:165], v[34:35]
	v_add_f64_e32 v[12:13], v[160:161], v[12:13]
	v_mul_f64_e32 v[75:76], -0.5, v[124:125]
	v_mul_f64_e32 v[73:74], s[2:3], v[122:123]
	v_mul_f64_e32 v[83:84], -0.5, v[140:141]
	v_fma_f64 v[64:65], v[120:121], -0.5, v[64:65]
	v_mul_f64_e32 v[130:131], s[4:5], v[2:3]
	v_mul_f64_e32 v[92:93], -0.5, v[148:149]
	v_fma_f64 v[85:86], v[134:135], s[2:3], v[6:7]
	v_fma_f64 v[6:7], v[134:135], s[4:5], v[6:7]
	v_mul_f64_e32 v[134:135], -0.5, v[18:19]
	v_mul_f64_e32 v[112:113], s[2:3], v[98:99]
	v_add_f64_e64 v[126:127], v[183:184], -v[205:206]
	v_add_f64_e32 v[144:145], v[174:175], v[168:169]
	v_fma_f64 v[38:39], v[178:179], -0.5, v[38:39]
	v_add_f64_e32 v[128:129], v[26:27], v[32:33]
	v_mul_f64_e32 v[110:111], -0.5, v[150:151]
	v_mul_f64_e32 v[108:109], s[2:3], v[116:117]
	v_add_f64_e64 v[26:27], v[26:27], -v[32:33]
	v_mul_f64_e32 v[32:33], s[4:5], v[48:49]
	v_mul_f64_e32 v[118:119], -0.5, v[104:105]
	v_mul_f64_e32 v[146:147], -0.5, v[60:61]
	v_add_f64_e32 v[106:107], v[106:107], v[170:171]
	v_add_f64_e32 v[120:121], v[24:25], v[100:101]
	v_add_f64_e64 v[24:25], v[24:25], -v[100:101]
	v_fma_f64 v[100:101], v[132:133], s[2:3], v[10:11]
	v_fma_f64 v[10:11], v[132:133], s[4:5], v[10:11]
	;; [unrolled: 1-line block ×3, first 2 shown]
	v_mul_f64_e32 v[156:157], s[4:5], v[50:51]
	v_fma_f64 v[0:1], v[138:139], s[4:5], v[0:1]
	v_mul_f64_e32 v[138:139], -0.5, v[68:69]
	v_mul_f64_e32 v[158:159], s[4:5], v[20:21]
	v_mul_f64_e32 v[160:161], -0.5, v[28:29]
	v_mul_f64_e32 v[162:163], s[4:5], v[22:23]
	v_mul_f64_e32 v[164:165], -0.5, v[30:31]
	v_fma_f64 v[48:49], v[48:49], 0.5, v[81:82]
	v_add_f64_e32 v[102:103], v[96:97], v[94:95]
	v_add_f64_e64 v[94:95], v[96:97], -v[94:95]
	v_fma_f64 v[96:97], v[180:181], s[2:3], v[8:9]
	v_fma_f64 v[50:51], v[50:51], 0.5, v[87:88]
	v_fma_f64 v[18:19], v[18:19], s[2:3], v[75:76]
	v_fma_f64 v[2:3], v[2:3], 0.5, v[73:74]
	v_fma_f64 v[60:61], v[60:61], s[2:3], v[83:84]
	v_fma_f64 v[8:9], v[180:181], s[4:5], v[8:9]
	v_add_f64_e32 v[152:153], v[12:13], v[34:35]
	v_fma_f64 v[68:69], v[68:69], s[2:3], v[92:93]
	v_add_f64_e64 v[12:13], v[12:13], -v[34:35]
	v_fma_f64 v[34:35], v[154:155], s[4:5], v[36:37]
	v_fma_f64 v[87:88], v[16:17], s[4:5], v[64:65]
	v_fma_f64 v[22:23], v[22:23], 0.5, v[112:113]
	v_fma_f64 v[16:17], v[16:17], s[2:3], v[64:65]
	v_fma_f64 v[64:65], v[122:123], 0.5, v[130:131]
	v_fma_f64 v[36:37], v[154:155], s[2:3], v[36:37]
	v_fma_f64 v[92:93], v[124:125], s[4:5], v[134:135]
	;; [unrolled: 1-line block ×3, first 2 shown]
	v_fma_f64 v[20:21], v[20:21], 0.5, v[108:109]
	v_add_f64_e32 v[73:74], v[144:145], v[54:55]
	v_add_f64_e64 v[75:76], v[144:145], -v[54:55]
	v_fma_f64 v[30:31], v[30:31], s[2:3], v[118:119]
	v_fma_f64 v[54:55], v[126:127], s[4:5], v[38:39]
	v_fma_f64 v[32:33], v[136:137], 0.5, v[32:33]
	v_fma_f64 v[38:39], v[126:127], s[2:3], v[38:39]
	v_fma_f64 v[110:111], v[140:141], s[4:5], v[146:147]
	;; [unrolled: 1-line block ×6, first 2 shown]
	v_add_f64_e32 v[108:109], v[106:107], v[79:80]
	v_add_f64_e64 v[79:80], v[106:107], -v[79:80]
	v_add_f64_e32 v[106:107], v[56:57], v[71:72]
	v_add_f64_e64 v[71:72], v[56:57], -v[71:72]
	v_fma_f64 v[56:57], v[90:91], 0.5, v[156:157]
	v_fma_f64 v[112:113], v[148:149], s[4:5], v[138:139]
	v_fma_f64 v[114:115], v[116:117], 0.5, v[158:159]
	v_fma_f64 v[116:117], v[150:151], s[4:5], v[160:161]
	;; [unrolled: 2-line block ×3, first 2 shown]
	v_add_nc_u32_e32 v229, 0x800, v187
	v_add_f64_e32 v[122:123], v[4:5], v[18:19]
	v_add_f64_e32 v[118:119], v[66:67], v[2:3]
	v_add_f64_e64 v[2:3], v[66:67], -v[2:3]
	v_add_f64_e64 v[4:5], v[4:5], -v[18:19]
	v_add_f64_e32 v[18:19], v[85:86], v[48:49]
	v_add_f64_e32 v[66:67], v[6:7], v[60:61]
	v_add_f64_e64 v[48:49], v[85:86], -v[48:49]
	v_add_f64_e64 v[6:7], v[6:7], -v[60:61]
	;; [unrolled: 4-line block ×3, first 2 shown]
	v_add_nc_u32_e32 v230, 0x400, v182
	v_add_f64_e32 v[134:135], v[36:37], v[92:93]
	v_add_f64_e32 v[96:97], v[10:11], v[28:29]
	v_add_f64_e32 v[68:69], v[100:101], v[20:21]
	v_add_f64_e64 v[20:21], v[100:101], -v[20:21]
	v_add_f64_e64 v[10:11], v[10:11], -v[28:29]
	v_add_f64_e32 v[28:29], v[132:133], v[22:23]
	v_add_f64_e32 v[100:101], v[0:1], v[30:31]
	v_add_f64_e64 v[22:23], v[132:133], -v[22:23]
	v_add_f64_e64 v[0:1], v[0:1], -v[30:31]
	v_add_f64_e32 v[132:133], v[34:35], v[64:65]
	v_add_f64_e64 v[64:65], v[34:35], -v[64:65]
	v_add_f64_e64 v[91:92], v[36:37], -v[92:93]
	v_add_f64_e32 v[136:137], v[54:55], v[32:33]
	v_add_f64_e32 v[140:141], v[38:39], v[110:111]
	v_add_nc_u32_e32 v231, 0x800, v182
	global_wb scope:SCOPE_SE
	s_barrier_signal -1
	s_barrier_wait -1
	global_inv scope:SCOPE_SE
	v_add_f64_e32 v[89:90], v[58:59], v[44:45]
	v_add_f64_e64 v[124:125], v[58:59], -v[44:45]
	v_add_f64_e32 v[126:127], v[52:53], v[46:47]
	v_add_f64_e64 v[130:131], v[52:53], -v[46:47]
	v_add_f64_e64 v[138:139], v[54:55], -v[32:33]
	;; [unrolled: 1-line block ×3, first 2 shown]
	v_add_f64_e32 v[142:143], v[81:82], v[56:57]
	v_add_f64_e64 v[81:82], v[81:82], -v[56:57]
	v_add_f64_e32 v[144:145], v[40:41], v[112:113]
	v_add_f64_e64 v[112:113], v[40:41], -v[112:113]
	;; [unrolled: 2-line block ×6, first 2 shown]
	ds_store_2addr_b64 v62, v[77:78], v[118:119] offset1:90
	ds_store_2addr_b64 v63, v[122:123], v[14:15] offset0:52 offset1:142
	ds_store_2addr_b64 v70, v[2:3], v[4:5] offset0:104 offset1:194
	ds_store_2addr_b64 v201, v[102:103], v[18:19] offset1:90
	ds_store_2addr_b64 v197, v[66:67], v[94:95] offset0:52 offset1:142
	ds_store_2addr_b64 v198, v[48:49], v[6:7] offset0:104 offset1:194
	;; [unrolled: 3-line block ×5, first 2 shown]
	global_wb scope:SCOPE_SE
	s_wait_dscnt 0x0
	s_barrier_signal -1
	s_barrier_wait -1
	global_inv scope:SCOPE_SE
	ds_load_2addr_b64 v[0:3], v214 offset1:108
	ds_load_2addr_b64 v[8:11], v188 offset0:48 offset1:156
	ds_load_2addr_b64 v[12:15], v215 offset0:56 offset1:164
	;; [unrolled: 1-line block ×14, first 2 shown]
	global_wb scope:SCOPE_SE
	s_wait_dscnt 0x0
	s_barrier_signal -1
	s_barrier_wait -1
	global_inv scope:SCOPE_SE
	ds_store_2addr_b64 v62, v[73:74], v[132:133] offset1:90
	ds_store_2addr_b64 v63, v[134:135], v[75:76] offset0:52 offset1:142
	ds_store_2addr_b64 v70, v[64:65], v[91:92] offset0:104 offset1:194
	ds_store_2addr_b64 v201, v[108:109], v[136:137] offset1:90
	ds_store_2addr_b64 v197, v[140:141], v[79:80] offset0:52 offset1:142
	ds_store_2addr_b64 v198, v[138:139], v[110:111] offset0:104 offset1:194
	ds_store_2addr_b64 v202, v[106:107], v[142:143] offset1:90
	ds_store_2addr_b64 v207, v[144:145], v[71:72] offset0:52 offset1:142
	ds_store_2addr_b64 v210, v[81:82], v[112:113] offset0:104 offset1:194
	ds_store_2addr_b64 v187, v[89:90], v[146:147] offset1:90
	ds_store_2addr_b64 v228, v[114:115], v[124:125] offset0:52 offset1:142
	ds_store_2addr_b64 v229, v[83:84], v[116:117] offset0:104 offset1:194
	ds_store_2addr_b64 v182, v[126:127], v[148:149] offset1:90
	ds_store_2addr_b64 v230, v[98:99], v[130:131] offset0:52 offset1:142
	ds_store_2addr_b64 v231, v[87:88], v[104:105] offset0:104 offset1:194
	global_wb scope:SCOPE_SE
	s_wait_dscnt 0x0
	s_barrier_signal -1
	s_barrier_wait -1
	global_inv scope:SCOPE_SE
	s_and_saveexec_b32 s0, vcc_lo
	s_cbranch_execz .LBB0_15
; %bb.14:
	v_mul_u32_u24_e32 v60, 5, v194
	v_mul_u32_u24_e32 v61, 5, v216
	v_mad_u32_u24 v210, v194, 5, 0xfffffde4
	v_mul_lo_u32 v224, s10, v173
	v_mad_co_u64_u32 v[212:213], null, s10, v172, 0
	v_lshlrev_b32_e32 v62, 4, v60
	v_lshlrev_b32_e32 v63, 4, v61
	v_lshlrev_b64_e32 v[60:61], 4, v[210:211]
	v_mad_u32_u24 v210, v194, 5, 0xfffffbc8
	s_clause 0x4
	global_load_b128 v[225:228], v62, s[8:9] offset:8608
	global_load_b128 v[204:207], v63, s[8:9] offset:8624
	;; [unrolled: 1-line block ×5, first 2 shown]
	v_mov_b32_e32 v245, v211
	v_add_co_u32 v60, vcc_lo, s8, v60
	s_wait_alu 0xfffd
	v_add_co_ci_u32_e32 v61, vcc_lo, s9, v61, vcc_lo
	s_clause 0x7
	global_load_b128 v[176:179], v[60:61], off offset:8624
	global_load_b128 v[144:147], v62, s[8:9] offset:8656
	global_load_b128 v[140:143], v[60:61], off offset:8656
	global_load_b128 v[136:139], v62, s[8:9] offset:8592
	;; [unrolled: 2-line block ×3, first 2 shown]
	global_load_b128 v[124:127], v63, s[8:9] offset:8640
	global_load_b128 v[120:123], v63, s[8:9] offset:8592
	v_lshlrev_b64_e32 v[62:63], 4, v[210:211]
	v_mad_u32_u24 v210, v194, 5, 0xfffff9ac
	global_load_b128 v[84:87], v[60:61], off offset:8608
	v_add_co_u32 v62, vcc_lo, s8, v62
	v_lshlrev_b64_e32 v[64:65], 4, v[210:211]
	s_wait_alu 0xfffd
	v_add_co_ci_u32_e32 v63, vcc_lo, s9, v63, vcc_lo
	s_clause 0x3
	global_load_b128 v[116:119], v[60:61], off offset:8640
	global_load_b128 v[104:107], v[62:63], off offset:8608
	global_load_b128 v[76:79], v[62:63], off offset:8640
	global_load_b128 v[72:75], v[62:63], off offset:8624
	v_add_co_u32 v60, vcc_lo, s8, v64
	s_wait_alu 0xfffd
	v_add_co_ci_u32_e32 v61, vcc_lo, s9, v65, vcc_lo
	s_clause 0x6
	global_load_b128 v[88:91], v[62:63], off offset:8656
	global_load_b128 v[108:111], v[60:61], off offset:8624
	;; [unrolled: 1-line block ×7, first 2 shown]
	ds_load_2addr_b64 v[60:63], v192 offset0:104 offset1:212
	ds_load_2addr_b64 v[64:67], v193 offset0:32 offset1:140
	;; [unrolled: 1-line block ×3, first 2 shown]
	v_mul_lo_u32 v210, s11, v172
	ds_load_2addr_b64 v[68:71], v188 offset0:48 offset1:156
	v_add3_u32 v213, v213, v224, v210
	s_delay_alu instid0(VALU_DEP_1)
	v_lshlrev_b64_e32 v[212:213], 4, v[212:213]
	s_wait_loadcnt_dscnt 0x1803
	v_mul_f64_e32 v[229:230], v[227:228], v[60:61]
	v_mul_f64_e32 v[231:232], v[225:226], v[60:61]
	s_wait_loadcnt 0x17
	v_mul_f64_e32 v[233:234], v[206:207], v[62:63]
	v_mul_f64_e32 v[235:236], v[204:205], v[62:63]
	s_wait_loadcnt_dscnt 0x1502
	v_mul_f64_e32 v[241:242], v[198:199], v[66:67]
	v_mul_f64_e32 v[243:244], v[196:197], v[66:67]
	;; [unrolled: 1-line block ×4, first 2 shown]
	ds_load_2addr_b64 v[180:183], v189 offset0:96 offset1:204
	ds_load_2addr_b64 v[188:191], v190 offset0:80 offset1:188
	;; [unrolled: 1-line block ×10, first 2 shown]
	ds_load_2addr_b64 v[60:63], v214 offset1:108
	v_lshlrev_b64_e32 v[214:215], 4, v[208:209]
	v_dual_mov_b32 v219, v211 :: v_dual_add_nc_u32 v220, 0x6c, v216
	v_mul_hi_u32 v218, 0xf2b9d649, v216
	v_dual_mov_b32 v221, v211 :: v_dual_add_nc_u32 v222, 0xd8, v216
	v_mov_b32_e32 v217, v211
	v_mov_b32_e32 v223, v211
	s_delay_alu instid0(VALU_DEP_4)
	v_lshrrev_b32_e32 v218, 9, v218
	v_fma_f64 v[208:209], v[56:57], v[225:226], -v[229:230]
	v_fma_f64 v[56:57], v[56:57], v[227:228], v[231:232]
	v_mov_b32_e32 v228, v211
	v_fma_f64 v[204:205], v[58:59], v[204:205], -v[233:234]
	s_wait_loadcnt_dscnt 0x140c
	v_mul_f64_e32 v[232:233], v[186:187], v[194:195]
	v_mul_f64_e32 v[194:195], v[184:185], v[194:195]
	v_fma_f64 v[58:59], v[58:59], v[206:207], v[235:236]
	v_mul_hi_u32 v206, 0xf2b9d649, v220
	v_dual_mov_b32 v234, v211 :: v_dual_add_nc_u32 v227, 0x144, v216
	v_fma_f64 v[196:197], v[54:55], v[196:197], -v[241:242]
	v_fma_f64 v[54:55], v[54:55], v[198:199], v[243:244]
	v_add_nc_u32_e32 v229, 0x1b0, v216
	v_fma_f64 v[200:201], v[52:53], v[200:201], -v[237:238]
	v_fma_f64 v[52:53], v[52:53], v[202:203], v[239:240]
	v_lshrrev_b32_e32 v198, 9, v206
	v_mul_hi_u32 v206, 0xf2b9d649, v227
	v_mul_hi_u32 v202, 0xf2b9d649, v222
	;; [unrolled: 1-line block ×3, first 2 shown]
	v_mov_b32_e32 v230, v211
	v_mul_u32_u24_e32 v210, 0x21c, v198
	v_mov_b32_e32 v226, v211
	v_lshrrev_b32_e32 v235, 9, v206
	s_delay_alu instid0(VALU_DEP_3)
	v_sub_nc_u32_e32 v210, v220, v210
	v_mul_u32_u24_e32 v206, 0x21c, v218
	v_lshrrev_b32_e32 v202, 9, v202
	v_lshrrev_b32_e32 v248, 9, v224
	v_mul_u32_u24_e32 v218, 0x21c, v235
	v_mad_u32_u24 v210, 0xca8, v198, v210
	v_sub_nc_u32_e32 v249, v216, v206
	v_add_co_u32 v206, vcc_lo, s6, v212
	s_delay_alu instid0(VALU_DEP_3)
	v_dual_mov_b32 v247, v211 :: v_dual_add_nc_u32 v216, 0x21c, v210
	s_wait_alu 0xfffd
	v_add_co_ci_u32_e32 v224, vcc_lo, s7, v213, vcc_lo
	v_lshlrev_b64_e32 v[212:213], 4, v[210:211]
	v_mov_b32_e32 v225, v211
	v_mul_u32_u24_e32 v198, 0x21c, v202
	v_sub_nc_u32_e32 v227, v227, v218
	v_add_nc_u32_e32 v218, 0x438, v210
	v_fma_f64 v[184:185], v[50:51], v[184:185], -v[232:233]
	v_fma_f64 v[50:51], v[50:51], v[186:187], v[194:195]
	s_wait_loadcnt 0x13
	v_mul_f64_e32 v[194:195], v[178:179], v[192:193]
	v_mul_f64_e32 v[192:193], v[176:177], v[192:193]
	v_add_co_u32 v250, vcc_lo, v206, v214
	s_wait_alu 0xfffd
	v_add_co_ci_u32_e32 v251, vcc_lo, v224, v215, vcc_lo
	v_lshlrev_b64_e32 v[216:217], 4, v[216:217]
	v_dual_mov_b32 v207, v211 :: v_dual_add_nc_u32 v220, 0x654, v210
	v_mov_b32_e32 v203, v211
	v_mov_b32_e32 v199, v211
	v_sub_nc_u32_e32 v198, v222, v198
	v_add_nc_u32_e32 v222, 0x870, v210
	v_add_nc_u32_e32 v210, 0xa8c, v210
	v_add_co_u32 v212, vcc_lo, v250, v212
	v_lshlrev_b64_e32 v[218:219], 4, v[218:219]
	s_wait_alu 0xfffd
	v_add_co_ci_u32_e32 v213, vcc_lo, v251, v213, vcc_lo
	v_lshlrev_b64_e32 v[220:221], 4, v[220:221]
	v_add_co_u32 v216, vcc_lo, v250, v216
	v_lshlrev_b64_e32 v[214:215], 4, v[210:211]
	v_mad_u32_u24 v210, 0xca8, v202, v198
	s_wait_alu 0xfffd
	v_add_co_ci_u32_e32 v217, vcc_lo, v251, v217, vcc_lo
	v_lshlrev_b64_e32 v[222:223], 4, v[222:223]
	v_add_co_u32 v218, vcc_lo, v250, v218
	s_wait_alu 0xfffd
	v_add_co_ci_u32_e32 v219, vcc_lo, v251, v219, vcc_lo
	v_add_co_u32 v220, vcc_lo, v250, v220
	v_dual_mov_b32 v231, v211 :: v_dual_add_nc_u32 v244, 0x21c, v210
	v_mul_u32_u24_e32 v236, 0x21c, v248
	v_lshlrev_b64_e32 v[186:187], 4, v[210:211]
	v_add_nc_u32_e32 v246, 0x438, v210
	v_add_nc_u32_e32 v224, 0x654, v210
	;; [unrolled: 1-line block ×4, first 2 shown]
	s_wait_alu 0xfffd
	v_add_co_ci_u32_e32 v221, vcc_lo, v251, v221, vcc_lo
	v_add_co_u32 v222, vcc_lo, v250, v222
	s_wait_alu 0xfffd
	v_add_co_ci_u32_e32 v223, vcc_lo, v251, v223, vcc_lo
	v_sub_nc_u32_e32 v198, v229, v236
	v_add_co_u32 v214, vcc_lo, v250, v214
	v_lshlrev_b64_e32 v[232:233], 4, v[210:211]
	v_mad_u32_u24 v210, 0xca8, v235, v227
	v_lshlrev_b64_e32 v[235:236], 4, v[244:245]
	s_wait_alu 0xfffd
	v_add_co_ci_u32_e32 v215, vcc_lo, v251, v215, vcc_lo
	v_lshlrev_b64_e32 v[237:238], 4, v[246:247]
	v_add_co_u32 v186, vcc_lo, v250, v186
	s_wait_alu 0xfffd
	v_add_co_ci_u32_e32 v187, vcc_lo, v251, v187, vcc_lo
	v_fma_f64 v[176:177], v[48:49], v[176:177], -v[194:195]
	v_fma_f64 v[48:49], v[48:49], v[178:179], v[192:193]
	s_wait_loadcnt_dscnt 0x1209
	v_mul_f64_e32 v[178:179], v[146:147], v[190:191]
	v_add_co_u32 v192, vcc_lo, v250, v235
	s_wait_alu 0xfffd
	v_add_co_ci_u32_e32 v193, vcc_lo, v251, v236, vcc_lo
	v_add_co_u32 v194, vcc_lo, v250, v237
	v_mul_f64_e32 v[190:191], v[144:145], v[190:191]
	s_wait_alu 0xfffd
	v_add_co_ci_u32_e32 v195, vcc_lo, v251, v238, vcc_lo
	s_wait_loadcnt 0x11
	v_mul_f64_e32 v[237:238], v[142:143], v[188:189]
	v_mul_f64_e32 v[188:189], v[140:141], v[188:189]
	v_lshlrev_b64_e32 v[239:240], 4, v[224:225]
	v_lshlrev_b64_e32 v[206:207], 4, v[206:207]
	v_add_nc_u32_e32 v225, 0x21c, v210
	v_lshlrev_b64_e32 v[241:242], 4, v[210:211]
	v_add_nc_u32_e32 v227, 0x438, v210
	v_add_nc_u32_e32 v202, 0x654, v210
	v_add_co_u32 v235, vcc_lo, v250, v239
	s_wait_alu 0xfffd
	v_add_co_ci_u32_e32 v236, vcc_lo, v251, v240, vcc_lo
	v_add_co_u32 v206, vcc_lo, v250, v206
	s_wait_alu 0xfffd
	v_add_co_ci_u32_e32 v207, vcc_lo, v251, v207, vcc_lo
	v_add_co_u32 v239, vcc_lo, v250, v232
	v_lshlrev_b64_e32 v[224:225], 4, v[225:226]
	s_wait_alu 0xfffd
	v_add_co_ci_u32_e32 v240, vcc_lo, v251, v233, vcc_lo
	v_add_co_u32 v241, vcc_lo, v250, v241
	v_lshlrev_b64_e32 v[226:227], 4, v[227:228]
	s_wait_alu 0xfffd
	v_add_co_ci_u32_e32 v242, vcc_lo, v251, v242, vcc_lo
	v_add_nc_u32_e32 v229, 0x870, v210
	v_lshlrev_b64_e32 v[202:203], 4, v[202:203]
	v_fma_f64 v[144:145], v[46:47], v[144:145], -v[178:179]
	v_add_co_u32 v178, vcc_lo, v250, v224
	s_wait_alu 0xfffd
	v_add_co_ci_u32_e32 v179, vcc_lo, v251, v225, vcc_lo
	v_add_co_u32 v224, vcc_lo, v250, v226
	v_fma_f64 v[46:47], v[46:47], v[146:147], v[190:191]
	s_wait_loadcnt 0xf
	v_mul_f64_e32 v[190:191], v[134:135], v[180:181]
	v_mul_f64_e32 v[180:181], v[132:133], v[180:181]
	s_wait_alu 0xfffd
	v_add_co_ci_u32_e32 v225, vcc_lo, v251, v227, vcc_lo
	s_wait_loadcnt_dscnt 0xe02
	v_mul_f64_e32 v[226:227], v[130:131], v[152:153]
	v_fma_f64 v[140:141], v[44:45], v[140:141], -v[237:238]
	v_fma_f64 v[44:45], v[44:45], v[142:143], v[188:189]
	v_mul_f64_e32 v[142:143], v[128:129], v[152:153]
	s_wait_loadcnt_dscnt 0xd01
	v_mul_f64_e32 v[152:153], v[126:127], v[156:157]
	v_mul_f64_e32 v[156:157], v[124:125], v[156:157]
	v_lshlrev_b64_e32 v[228:229], 4, v[229:230]
	v_add_co_u32 v202, vcc_lo, v250, v202
	s_wait_alu 0xfffd
	v_add_co_ci_u32_e32 v203, vcc_lo, v251, v203, vcc_lo
	v_mul_f64_e32 v[245:246], v[138:139], v[182:183]
	s_delay_alu instid0(VALU_DEP_4)
	v_add_co_u32 v188, vcc_lo, v250, v228
	v_mul_f64_e32 v[182:183], v[136:137], v[182:183]
	s_wait_alu 0xfffd
	v_add_co_ci_u32_e32 v189, vcc_lo, v251, v229, vcc_lo
	s_wait_loadcnt 0xc
	v_mul_f64_e32 v[228:229], v[122:123], v[70:71]
	v_mul_f64_e32 v[70:71], v[120:121], v[70:71]
	s_wait_loadcnt 0x7
	v_mul_f64_e32 v[237:238], v[72:73], v[166:167]
	v_add_nc_u32_e32 v210, 0xa8c, v210
	v_lshlrev_b32_e32 v247, 4, v249
	s_delay_alu instid0(VALU_DEP_2) | instskip(SKIP_1) | instid1(VALU_DEP_1)
	v_lshlrev_b64_e32 v[243:244], 4, v[210:211]
	v_mad_u32_u24 v210, 0xca8, v248, v198
	v_add_nc_u32_e32 v198, 0x21c, v210
	v_add_nc_u32_e32 v230, 0x438, v210
	;; [unrolled: 1-line block ×3, first 2 shown]
	v_fma_f64 v[132:133], v[40:41], v[132:133], -v[190:191]
	v_fma_f64 v[40:41], v[40:41], v[134:135], v[180:181]
	v_mul_f64_e32 v[180:181], v[106:107], v[172:173]
	v_mul_f64_e32 v[172:173], v[104:105], v[172:173]
	v_fma_f64 v[128:129], v[12:13], v[128:129], -v[226:227]
	v_mul_f64_e32 v[134:135], v[84:85], v[174:175]
	v_mul_f64_e32 v[190:191], v[78:79], v[168:169]
	v_fma_f64 v[12:13], v[12:13], v[130:131], v[142:143]
	s_wait_loadcnt 0x6
	v_mul_f64_e32 v[130:131], v[88:89], v[162:163]
	v_fma_f64 v[124:125], v[20:21], v[124:125], -v[152:153]
	v_fma_f64 v[20:21], v[20:21], v[126:127], v[156:157]
	v_mul_f64_e32 v[126:127], v[90:91], v[162:163]
	s_wait_loadcnt 0x5
	v_mul_f64_e32 v[152:153], v[110:111], v[164:165]
	v_mul_f64_e32 v[156:157], v[108:109], v[164:165]
	s_wait_loadcnt 0x4
	v_mul_f64_e32 v[162:163], v[114:115], v[160:161]
	v_mul_f64_e32 v[160:161], v[112:113], v[160:161]
	;; [unrolled: 1-line block ×3, first 2 shown]
	v_fma_f64 v[136:137], v[42:43], v[136:137], -v[245:246]
	v_fma_f64 v[42:43], v[42:43], v[138:139], v[182:183]
	v_lshlrev_b64_e32 v[182:183], 4, v[198:199]
	v_lshlrev_b64_e32 v[198:199], 4, v[230:231]
	;; [unrolled: 1-line block ×3, first 2 shown]
	v_mul_f64_e32 v[232:233], v[86:87], v[174:175]
	v_mul_f64_e32 v[174:175], v[118:119], v[170:171]
	;; [unrolled: 1-line block ×3, first 2 shown]
	s_wait_loadcnt 0x3
	v_mul_f64_e32 v[164:165], v[102:103], v[150:151]
	v_fma_f64 v[120:121], v[10:11], v[120:121], -v[228:229]
	v_mov_b32_e32 v229, v211
	v_fma_f64 v[10:11], v[10:11], v[122:123], v[70:71]
	v_mul_f64_e32 v[70:71], v[100:101], v[150:151]
	s_wait_loadcnt 0x2
	v_mul_f64_e32 v[122:123], v[98:99], v[154:155]
	v_mul_f64_e32 v[150:151], v[96:97], v[154:155]
	s_wait_loadcnt 0x1
	v_mul_f64_e32 v[154:155], v[94:95], v[158:159]
	s_wait_loadcnt 0x0
	v_mul_f64_e32 v[166:167], v[82:83], v[148:149]
	v_mul_f64_e32 v[148:149], v[80:81], v[148:149]
	v_fma_f64 v[74:75], v[26:27], v[74:75], v[237:238]
	v_mul_f64_e32 v[170:171], v[116:117], v[170:171]
	v_mul_f64_e32 v[158:159], v[92:93], v[158:159]
	v_lshlrev_b64_e32 v[146:147], 4, v[210:211]
	v_add_co_u32 v138, vcc_lo, v250, v243
	v_fma_f64 v[104:105], v[36:37], v[104:105], -v[180:181]
	v_fma_f64 v[36:37], v[36:37], v[106:107], v[172:173]
	s_wait_alu 0xfffd
	v_add_co_ci_u32_e32 v139, vcc_lo, v251, v244, vcc_lo
	v_fma_f64 v[76:77], v[32:33], v[76:77], -v[190:191]
	v_fma_f64 v[90:91], v[30:31], v[90:91], v[130:131]
	v_add_f64_e64 v[130:131], v[204:205], -v[196:197]
	v_add_co_u32 v146, vcc_lo, v250, v146
	v_fma_f64 v[30:31], v[30:31], v[88:89], -v[126:127]
	v_fma_f64 v[106:107], v[24:25], v[110:111], v[156:157]
	v_fma_f64 v[24:25], v[24:25], v[108:109], -v[152:153]
	v_fma_f64 v[110:111], v[28:29], v[114:115], v[160:161]
	v_fma_f64 v[28:29], v[28:29], v[112:113], -v[162:163]
	v_fma_f64 v[26:27], v[26:27], v[72:73], -v[142:143]
	v_add_f64_e32 v[108:109], v[58:59], v[54:55]
	v_add_f64_e32 v[142:143], v[48:49], v[44:45]
	;; [unrolled: 1-line block ×4, first 2 shown]
	v_fma_f64 v[84:85], v[38:39], v[84:85], -v[232:233]
	v_fma_f64 v[38:39], v[38:39], v[86:87], v[134:135]
	v_fma_f64 v[86:87], v[34:35], v[116:117], -v[174:175]
	v_fma_f64 v[32:33], v[32:33], v[78:79], v[168:169]
	v_fma_f64 v[78:79], v[18:19], v[100:101], -v[164:165]
	v_add_f64_e32 v[116:117], v[204:205], v[196:197]
	v_add_f64_e32 v[112:113], v[8:9], v[208:209]
	v_fma_f64 v[18:19], v[18:19], v[102:103], v[70:71]
	v_fma_f64 v[70:71], v[14:15], v[96:97], -v[122:123]
	v_fma_f64 v[14:15], v[14:15], v[98:99], v[150:151]
	v_add_f64_e32 v[98:99], v[50:51], v[46:47]
	v_fma_f64 v[72:73], v[22:23], v[92:93], -v[154:155]
	v_fma_f64 v[80:81], v[16:17], v[80:81], -v[166:167]
	v_fma_f64 v[16:17], v[16:17], v[82:83], v[148:149]
	v_fma_f64 v[34:35], v[34:35], v[118:119], v[170:171]
	;; [unrolled: 1-line block ×3, first 2 shown]
	v_add_f64_e32 v[92:93], v[184:185], v[144:145]
	v_add_f64_e64 v[82:83], v[208:209], -v[200:201]
	v_add_f64_e64 v[94:95], v[50:51], -v[46:47]
	;; [unrolled: 1-line block ×3, first 2 shown]
	v_add_f64_e32 v[50:51], v[42:43], v[50:51]
	v_add_f64_e32 v[102:103], v[208:209], v[200:201]
	;; [unrolled: 1-line block ×5, first 2 shown]
	v_add_f64_e64 v[126:127], v[58:59], -v[54:55]
	v_add_f64_e32 v[58:59], v[10:11], v[58:59]
	v_add_f64_e64 v[168:169], v[176:177], -v[140:141]
	v_add_f64_e32 v[174:175], v[132:133], v[176:177]
	;; [unrolled: 2-line block ×3, first 2 shown]
	v_add_f64_e32 v[152:153], v[106:107], v[110:111]
	v_add_f64_e32 v[154:155], v[24:25], v[28:29]
	;; [unrolled: 1-line block ×3, first 2 shown]
	v_fma_f64 v[10:11], v[108:109], -0.5, v[10:11]
	v_add_f64_e32 v[156:157], v[120:121], v[204:205]
	v_add_f64_e64 v[190:191], v[26:27], -v[30:31]
	v_add_f64_e64 v[232:233], v[24:25], -v[28:29]
	v_add_f64_e32 v[100:101], v[56:57], v[68:69]
	v_add_f64_e64 v[118:119], v[128:129], -v[124:125]
	v_add_f64_e64 v[158:159], v[84:85], -v[86:87]
	v_add_f64_e32 v[172:173], v[84:85], v[86:87]
	v_add_f64_e32 v[84:85], v[6:7], v[84:85]
	v_add_f64_e32 v[26:27], v[78:79], v[26:27]
	v_add_f64_e32 v[148:149], v[128:129], v[124:125]
	v_add_f64_e32 v[128:129], v[0:1], v[128:129]
	v_add_f64_e64 v[184:185], v[74:75], -v[90:91]
	v_add_f64_e32 v[74:75], v[18:19], v[74:75]
	v_fma_f64 v[42:43], v[98:99], -0.5, v[42:43]
	v_add_f64_e32 v[98:99], v[4:5], v[104:105]
	v_fma_f64 v[104:105], v[116:117], -0.5, v[120:121]
	v_add_f64_e64 v[120:121], v[106:107], -v[110:111]
	v_add_f64_e32 v[106:107], v[16:17], v[106:107]
	v_add_f64_e32 v[24:25], v[80:81], v[24:25]
	v_add_f64_e64 v[164:165], v[48:49], -v[44:45]
	v_add_f64_e32 v[48:49], v[40:41], v[48:49]
	v_fma_f64 v[40:41], v[142:143], -0.5, v[40:41]
	s_wait_dscnt 0x0
	v_add_f64_e32 v[134:135], v[12:13], v[60:61]
	v_add_f64_e32 v[160:161], v[38:39], v[34:35]
	v_add_f64_e64 v[108:109], v[70:71], -v[72:73]
	v_add_f64_e32 v[116:117], v[14:15], v[22:23]
	v_add_f64_e32 v[142:143], v[14:15], v[62:63]
	v_fma_f64 v[18:19], v[150:151], -0.5, v[18:19]
	v_add_f64_e32 v[150:151], v[70:71], v[72:73]
	v_fma_f64 v[68:69], v[88:89], -0.5, v[68:69]
	v_add_f64_e64 v[56:57], v[56:57], -v[52:53]
	v_add_f64_e32 v[170:171], v[38:39], v[66:67]
	v_add_f64_e32 v[46:47], v[50:51], v[46:47]
	v_fma_f64 v[8:9], v[102:103], -0.5, v[8:9]
	v_fma_f64 v[16:17], v[152:153], -0.5, v[16:17]
	;; [unrolled: 1-line block ×4, first 2 shown]
	v_add_f64_e64 v[152:153], v[14:15], -v[22:23]
	v_add_f64_e32 v[14:15], v[2:3], v[70:71]
	v_fma_f64 v[70:71], v[92:93], -0.5, v[136:137]
	v_fma_f64 v[92:93], v[162:163], -0.5, v[132:133]
	v_add_f64_e32 v[50:51], v[112:113], v[200:201]
	v_add_f64_e32 v[88:89], v[114:115], v[144:145]
	v_fma_f64 v[60:61], v[122:123], -0.5, v[60:61]
	v_fma_f64 v[122:123], v[130:131], s[4:5], v[10:11]
	v_add_f64_e32 v[84:85], v[84:85], v[86:87]
	v_fma_f64 v[86:87], v[130:131], s[2:3], v[10:11]
	v_add_f64_e32 v[130:131], v[26:27], v[30:31]
	v_add_f64_e32 v[180:181], v[36:37], v[32:33]
	;; [unrolled: 1-line block ×4, first 2 shown]
	v_fma_f64 v[112:113], v[96:97], s[2:3], v[42:43]
	v_add_f64_e32 v[76:77], v[98:99], v[76:77]
	v_fma_f64 v[114:115], v[126:127], s[2:3], v[104:105]
	v_fma_f64 v[104:105], v[126:127], s[4:5], v[104:105]
	v_add_f64_e32 v[74:75], v[74:75], v[90:91]
	v_add_f64_e64 v[12:13], v[12:13], -v[20:21]
	v_add_f64_e32 v[54:55], v[58:59], v[54:55]
	v_fma_f64 v[58:59], v[148:149], -0.5, v[0:1]
	v_fma_f64 v[90:91], v[168:169], s[2:3], v[40:41]
	v_add_f64_e32 v[20:21], v[20:21], v[134:135]
	v_add_f64_e32 v[106:107], v[106:107], v[110:111]
	;; [unrolled: 1-line block ×3, first 2 shown]
	v_fma_f64 v[66:67], v[160:161], -0.5, v[66:67]
	v_fma_f64 v[40:41], v[168:169], s[4:5], v[40:41]
	v_fma_f64 v[128:129], v[190:191], s[2:3], v[18:19]
	v_add_f64_e32 v[134:135], v[24:25], v[28:29]
	v_add_f64_e64 v[38:39], v[38:39], -v[34:35]
	v_add_f64_e32 v[44:45], v[48:49], v[44:45]
	v_fma_f64 v[48:49], v[172:173], -0.5, v[6:7]
	v_add_f64_e32 v[124:125], v[174:175], v[140:141]
	v_fma_f64 v[140:141], v[82:83], s[4:5], v[68:69]
	v_fma_f64 v[30:31], v[232:233], s[4:5], v[16:17]
	;; [unrolled: 1-line block ×13, first 2 shown]
	v_fma_f64 v[62:63], v[116:117], -0.5, v[62:63]
	v_add_f64_e32 v[116:117], v[22:23], v[142:143]
	v_fma_f64 v[22:23], v[94:95], s[4:5], v[70:71]
	v_add_f64_e32 v[34:35], v[34:35], v[170:171]
	v_fma_f64 v[142:143], v[56:57], s[4:5], v[8:9]
	v_mul_f64_e32 v[28:29], -0.5, v[112:113]
	v_fma_f64 v[144:145], v[56:57], s[2:3], v[8:9]
	v_mul_f64_e32 v[56:57], -0.5, v[86:87]
	v_mul_f64_e32 v[70:71], s[4:5], v[114:115]
	v_mul_f64_e32 v[82:83], -0.5, v[104:105]
	v_mul_f64_e32 v[94:95], s[2:3], v[122:123]
	v_fma_f64 v[126:127], v[208:209], -0.5, v[4:5]
	v_fma_f64 v[132:133], v[150:151], -0.5, v[2:3]
	v_add_f64_e64 v[0:1], v[50:51], -v[88:89]
	v_add_f64_e32 v[4:5], v[50:51], v[88:89]
	v_fma_f64 v[88:89], v[118:119], s[2:3], v[60:61]
	v_fma_f64 v[60:61], v[118:119], s[4:5], v[60:61]
	v_add_f64_e32 v[204:205], v[36:37], v[64:65]
	v_fma_f64 v[64:65], v[180:181], -0.5, v[64:65]
	v_add_f64_e64 v[2:3], v[52:53], -v[46:47]
	v_add_f64_e32 v[6:7], v[52:53], v[46:47]
	v_mul_f64_e32 v[50:51], -0.5, v[128:129]
	v_mul_f64_e32 v[46:47], -0.5, v[90:91]
	v_add_f64_e64 v[36:37], v[36:37], -v[32:33]
	v_add_f64_e32 v[72:73], v[14:15], v[72:73]
	v_add_f64_e64 v[10:11], v[20:21], -v[54:55]
	v_mul_f64_e32 v[148:149], s[2:3], v[30:31]
	v_mul_f64_e32 v[118:119], s[4:5], v[26:27]
	v_mul_f64_e32 v[52:53], -0.5, v[98:99]
	v_mul_f64_e32 v[150:151], -0.5, v[80:81]
	v_fma_f64 v[96:97], v[12:13], s[4:5], v[58:59]
	v_fma_f64 v[154:155], v[12:13], s[2:3], v[58:59]
	v_add_f64_e32 v[14:15], v[20:21], v[54:55]
	v_mul_f64_e32 v[54:55], s[4:5], v[110:111]
	v_mul_f64_e32 v[58:59], s[2:3], v[120:121]
	v_mul_f64_e32 v[156:157], -0.5, v[78:79]
	v_add_f64_e64 v[8:9], v[100:101], -v[102:103]
	v_add_f64_e32 v[12:13], v[100:101], v[102:103]
	v_fma_f64 v[100:101], v[158:159], s[2:3], v[66:67]
	v_fma_f64 v[158:159], v[158:159], s[4:5], v[66:67]
	v_mul_f64_e32 v[66:67], s[4:5], v[136:137]
	v_mul_f64_e32 v[102:103], s[2:3], v[40:41]
	v_mul_f64_e32 v[160:161], -0.5, v[24:25]
	v_fma_f64 v[162:163], v[38:39], s[4:5], v[48:49]
	v_fma_f64 v[164:165], v[38:39], s[2:3], v[48:49]
	v_mul_f64_e32 v[48:49], s[4:5], v[68:69]
	v_mul_f64_e32 v[166:167], s[2:3], v[42:43]
	v_mul_f64_e32 v[168:169], -0.5, v[22:23]
	v_add_f64_e64 v[18:19], v[34:35], -v[44:45]
	v_fma_f64 v[170:171], v[22:23], s[4:5], v[28:29]
	v_add_f64_e32 v[22:23], v[34:35], v[44:45]
	v_fma_f64 v[44:45], v[104:105], s[4:5], v[56:57]
	v_fma_f64 v[56:57], v[122:123], 0.5, v[70:71]
	v_fma_f64 v[70:71], v[86:87], s[2:3], v[82:83]
	v_fma_f64 v[82:83], v[114:115], 0.5, v[94:95]
	v_fma_f64 v[104:105], v[108:109], s[4:5], v[62:63]
	v_fma_f64 v[114:115], v[152:153], s[2:3], v[132:133]
	v_add_f64_e32 v[32:33], v[32:33], v[204:205]
	v_add_f64_e64 v[16:17], v[84:85], -v[124:125]
	v_add_f64_e32 v[20:21], v[84:85], v[124:125]
	v_fma_f64 v[84:85], v[176:177], s[2:3], v[64:65]
	v_fma_f64 v[86:87], v[108:109], s[2:3], v[62:63]
	;; [unrolled: 1-line block ×4, first 2 shown]
	v_fma_f64 v[122:123], v[26:27], 0.5, v[148:149]
	v_fma_f64 v[118:119], v[30:31], 0.5, v[118:119]
	v_fma_f64 v[80:81], v[80:81], s[4:5], v[52:53]
	v_fma_f64 v[98:99], v[98:99], s[2:3], v[150:151]
	;; [unrolled: 1-line block ×6, first 2 shown]
	v_fma_f64 v[120:121], v[120:121], 0.5, v[54:55]
	v_fma_f64 v[110:111], v[110:111], 0.5, v[58:59]
	v_fma_f64 v[128:129], v[128:129], s[2:3], v[156:157]
	v_add_f64_e64 v[24:25], v[76:77], -v[130:131]
	v_add_f64_e32 v[28:29], v[76:77], v[130:131]
	v_add_f64_e64 v[34:35], v[116:117], -v[106:107]
	v_fma_f64 v[40:41], v[40:41], 0.5, v[66:67]
	v_fma_f64 v[130:131], v[136:137], 0.5, v[102:103]
	v_fma_f64 v[132:133], v[90:91], s[2:3], v[160:161]
	v_add_f64_e32 v[38:39], v[116:117], v[106:107]
	v_add_f64_e32 v[36:37], v[72:73], v[134:135]
	v_fma_f64 v[116:117], v[42:43], 0.5, v[48:49]
	v_fma_f64 v[136:137], v[68:69], 0.5, v[166:167]
	v_fma_f64 v[148:149], v[112:113], s[2:3], v[168:169]
	s_wait_alu 0xfffd
	v_add_co_ci_u32_e32 v147, vcc_lo, v251, v147, vcc_lo
	v_add_f64_e64 v[42:43], v[92:93], -v[170:171]
	v_add_f64_e32 v[58:59], v[88:89], v[44:45]
	v_add_f64_e64 v[54:55], v[60:61], -v[56:57]
	v_add_f64_e32 v[62:63], v[60:61], v[56:57]
	v_add_f64_e32 v[60:61], v[154:155], v[82:83]
	;; [unrolled: 1-line block ×3, first 2 shown]
	v_add_f64_e64 v[52:53], v[154:155], -v[82:83]
	v_add_f64_e64 v[50:51], v[88:89], -v[44:45]
	;; [unrolled: 1-line block ×4, first 2 shown]
	v_add_f64_e32 v[30:31], v[32:33], v[74:75]
	v_add_f64_e64 v[32:33], v[72:73], -v[134:135]
	v_add_f64_e64 v[74:75], v[84:85], -v[78:79]
	v_add_f64_e32 v[78:79], v[84:85], v[78:79]
	v_add_f64_e32 v[88:89], v[114:115], v[122:123]
	;; [unrolled: 1-line block ×3, first 2 shown]
	v_add_f64_e64 v[82:83], v[86:87], -v[80:81]
	v_add_f64_e32 v[86:87], v[86:87], v[80:81]
	v_add_f64_e32 v[84:85], v[108:109], v[98:99]
	;; [unrolled: 1-line block ×3, first 2 shown]
	v_add_f64_e64 v[66:67], v[100:101], -v[94:95]
	v_add_f64_e32 v[70:71], v[100:101], v[94:95]
	v_add_f64_e64 v[94:95], v[104:105], -v[118:119]
	v_add_f64_e64 v[92:93], v[114:115], -v[122:123]
	;; [unrolled: 1-line block ×3, first 2 shown]
	v_add_f64_e32 v[98:99], v[64:65], v[120:121]
	v_add_f64_e32 v[96:97], v[126:127], v[110:111]
	;; [unrolled: 1-line block ×3, first 2 shown]
	v_add_f64_e64 v[102:103], v[64:65], -v[120:121]
	v_add_f64_e64 v[100:101], v[126:127], -v[110:111]
	;; [unrolled: 1-line block ×3, first 2 shown]
	v_add_f64_e32 v[106:107], v[158:159], v[40:41]
	v_add_f64_e32 v[104:105], v[164:165], v[130:131]
	;; [unrolled: 1-line block ×3, first 2 shown]
	v_add_co_u32 v182, vcc_lo, v250, v182
	v_add_nc_u32_e32 v228, 0x870, v210
	v_add_f64_e64 v[110:111], v[158:159], -v[40:41]
	v_add_f64_e64 v[108:109], v[164:165], -v[130:131]
	s_wait_alu 0xfffd
	v_add_co_ci_u32_e32 v183, vcc_lo, v251, v183, vcc_lo
	v_add_f64_e64 v[64:65], v[162:163], -v[132:133]
	v_add_co_u32 v198, vcc_lo, v250, v198
	v_add_nc_u32_e32 v210, 0xa8c, v210
	v_add_f64_e32 v[114:115], v[140:141], v[116:117]
	v_add_f64_e32 v[112:113], v[144:145], v[136:137]
	s_wait_alu 0xfffd
	v_add_co_ci_u32_e32 v199, vcc_lo, v251, v199, vcc_lo
	v_add_f64_e32 v[44:45], v[142:143], v[148:149]
	v_add_co_u32 v226, vcc_lo, v250, v230
	v_lshlrev_b64_e32 v[228:229], 4, v[228:229]
	v_add_f64_e64 v[118:119], v[140:141], -v[116:117]
	v_add_f64_e64 v[116:117], v[144:145], -v[136:137]
	s_wait_alu 0xfffd
	v_add_co_ci_u32_e32 v227, vcc_lo, v251, v231, vcc_lo
	v_add_f64_e64 v[40:41], v[142:143], -v[148:149]
	v_add_co_u32 v230, vcc_lo, v250, v247
	v_lshlrev_b64_e32 v[210:211], 4, v[210:211]
	s_wait_alu 0xfffd
	v_add_co_ci_u32_e32 v231, vcc_lo, 0, v251, vcc_lo
	v_add_co_u32 v120, vcc_lo, v250, v228
	s_wait_alu 0xfffd
	v_add_co_ci_u32_e32 v121, vcc_lo, v251, v229, vcc_lo
	v_add_co_u32 v122, vcc_lo, v250, v210
	s_wait_alu 0xfffd
	v_add_co_ci_u32_e32 v123, vcc_lo, v251, v211, vcc_lo
	s_clause 0x1d
	global_store_b128 v[230:231], v[12:15], off
	global_store_b128 v[230:231], v[60:63], off offset:8640
	global_store_b128 v[230:231], v[56:59], off offset:17280
	;; [unrolled: 1-line block ×5, first 2 shown]
	global_store_b128 v[212:213], v[36:39], off
	global_store_b128 v[216:217], v[88:91], off
	;; [unrolled: 1-line block ×24, first 2 shown]
.LBB0_15:
	s_nop 0
	s_sendmsg sendmsg(MSG_DEALLOC_VGPRS)
	s_endpgm
	.section	.rodata,"a",@progbits
	.p2align	6, 0x0
	.amdhsa_kernel fft_rtc_fwd_len3240_factors_3_3_10_6_6_wgs_108_tpt_108_halfLds_dp_op_CI_CI_unitstride_sbrr_dirReg
		.amdhsa_group_segment_fixed_size 0
		.amdhsa_private_segment_fixed_size 0
		.amdhsa_kernarg_size 104
		.amdhsa_user_sgpr_count 2
		.amdhsa_user_sgpr_dispatch_ptr 0
		.amdhsa_user_sgpr_queue_ptr 0
		.amdhsa_user_sgpr_kernarg_segment_ptr 1
		.amdhsa_user_sgpr_dispatch_id 0
		.amdhsa_user_sgpr_private_segment_size 0
		.amdhsa_wavefront_size32 1
		.amdhsa_uses_dynamic_stack 0
		.amdhsa_enable_private_segment 0
		.amdhsa_system_sgpr_workgroup_id_x 1
		.amdhsa_system_sgpr_workgroup_id_y 0
		.amdhsa_system_sgpr_workgroup_id_z 0
		.amdhsa_system_sgpr_workgroup_info 0
		.amdhsa_system_vgpr_workitem_id 0
		.amdhsa_next_free_vgpr 252
		.amdhsa_next_free_sgpr 39
		.amdhsa_reserve_vcc 1
		.amdhsa_float_round_mode_32 0
		.amdhsa_float_round_mode_16_64 0
		.amdhsa_float_denorm_mode_32 3
		.amdhsa_float_denorm_mode_16_64 3
		.amdhsa_fp16_overflow 0
		.amdhsa_workgroup_processor_mode 1
		.amdhsa_memory_ordered 1
		.amdhsa_forward_progress 0
		.amdhsa_round_robin_scheduling 0
		.amdhsa_exception_fp_ieee_invalid_op 0
		.amdhsa_exception_fp_denorm_src 0
		.amdhsa_exception_fp_ieee_div_zero 0
		.amdhsa_exception_fp_ieee_overflow 0
		.amdhsa_exception_fp_ieee_underflow 0
		.amdhsa_exception_fp_ieee_inexact 0
		.amdhsa_exception_int_div_zero 0
	.end_amdhsa_kernel
	.text
.Lfunc_end0:
	.size	fft_rtc_fwd_len3240_factors_3_3_10_6_6_wgs_108_tpt_108_halfLds_dp_op_CI_CI_unitstride_sbrr_dirReg, .Lfunc_end0-fft_rtc_fwd_len3240_factors_3_3_10_6_6_wgs_108_tpt_108_halfLds_dp_op_CI_CI_unitstride_sbrr_dirReg
                                        ; -- End function
	.section	.AMDGPU.csdata,"",@progbits
; Kernel info:
; codeLenInByte = 19484
; NumSgprs: 41
; NumVgprs: 252
; ScratchSize: 0
; MemoryBound: 1
; FloatMode: 240
; IeeeMode: 1
; LDSByteSize: 0 bytes/workgroup (compile time only)
; SGPRBlocks: 5
; VGPRBlocks: 31
; NumSGPRsForWavesPerEU: 41
; NumVGPRsForWavesPerEU: 252
; Occupancy: 5
; WaveLimiterHint : 1
; COMPUTE_PGM_RSRC2:SCRATCH_EN: 0
; COMPUTE_PGM_RSRC2:USER_SGPR: 2
; COMPUTE_PGM_RSRC2:TRAP_HANDLER: 0
; COMPUTE_PGM_RSRC2:TGID_X_EN: 1
; COMPUTE_PGM_RSRC2:TGID_Y_EN: 0
; COMPUTE_PGM_RSRC2:TGID_Z_EN: 0
; COMPUTE_PGM_RSRC2:TIDIG_COMP_CNT: 0
	.text
	.p2alignl 7, 3214868480
	.fill 96, 4, 3214868480
	.type	__hip_cuid_1cd5e0bb4a661ddc,@object ; @__hip_cuid_1cd5e0bb4a661ddc
	.section	.bss,"aw",@nobits
	.globl	__hip_cuid_1cd5e0bb4a661ddc
__hip_cuid_1cd5e0bb4a661ddc:
	.byte	0                               ; 0x0
	.size	__hip_cuid_1cd5e0bb4a661ddc, 1

	.ident	"AMD clang version 19.0.0git (https://github.com/RadeonOpenCompute/llvm-project roc-6.4.0 25133 c7fe45cf4b819c5991fe208aaa96edf142730f1d)"
	.section	".note.GNU-stack","",@progbits
	.addrsig
	.addrsig_sym __hip_cuid_1cd5e0bb4a661ddc
	.amdgpu_metadata
---
amdhsa.kernels:
  - .args:
      - .actual_access:  read_only
        .address_space:  global
        .offset:         0
        .size:           8
        .value_kind:     global_buffer
      - .offset:         8
        .size:           8
        .value_kind:     by_value
      - .actual_access:  read_only
        .address_space:  global
        .offset:         16
        .size:           8
        .value_kind:     global_buffer
      - .actual_access:  read_only
        .address_space:  global
        .offset:         24
        .size:           8
        .value_kind:     global_buffer
      - .actual_access:  read_only
        .address_space:  global
        .offset:         32
        .size:           8
        .value_kind:     global_buffer
      - .offset:         40
        .size:           8
        .value_kind:     by_value
      - .actual_access:  read_only
        .address_space:  global
        .offset:         48
        .size:           8
        .value_kind:     global_buffer
      - .actual_access:  read_only
        .address_space:  global
        .offset:         56
        .size:           8
        .value_kind:     global_buffer
      - .offset:         64
        .size:           4
        .value_kind:     by_value
      - .actual_access:  read_only
        .address_space:  global
        .offset:         72
        .size:           8
        .value_kind:     global_buffer
      - .actual_access:  read_only
        .address_space:  global
        .offset:         80
        .size:           8
        .value_kind:     global_buffer
      - .actual_access:  read_only
        .address_space:  global
        .offset:         88
        .size:           8
        .value_kind:     global_buffer
      - .actual_access:  write_only
        .address_space:  global
        .offset:         96
        .size:           8
        .value_kind:     global_buffer
    .group_segment_fixed_size: 0
    .kernarg_segment_align: 8
    .kernarg_segment_size: 104
    .language:       OpenCL C
    .language_version:
      - 2
      - 0
    .max_flat_workgroup_size: 108
    .name:           fft_rtc_fwd_len3240_factors_3_3_10_6_6_wgs_108_tpt_108_halfLds_dp_op_CI_CI_unitstride_sbrr_dirReg
    .private_segment_fixed_size: 0
    .sgpr_count:     41
    .sgpr_spill_count: 0
    .symbol:         fft_rtc_fwd_len3240_factors_3_3_10_6_6_wgs_108_tpt_108_halfLds_dp_op_CI_CI_unitstride_sbrr_dirReg.kd
    .uniform_work_group_size: 1
    .uses_dynamic_stack: false
    .vgpr_count:     252
    .vgpr_spill_count: 0
    .wavefront_size: 32
    .workgroup_processor_mode: 1
amdhsa.target:   amdgcn-amd-amdhsa--gfx1201
amdhsa.version:
  - 1
  - 2
...

	.end_amdgpu_metadata
